;; amdgpu-corpus repo=ROCm/rocFFT kind=compiled arch=gfx950 opt=O3
	.text
	.amdgcn_target "amdgcn-amd-amdhsa--gfx950"
	.amdhsa_code_object_version 6
	.protected	bluestein_single_fwd_len306_dim1_dp_op_CI_CI ; -- Begin function bluestein_single_fwd_len306_dim1_dp_op_CI_CI
	.globl	bluestein_single_fwd_len306_dim1_dp_op_CI_CI
	.p2align	8
	.type	bluestein_single_fwd_len306_dim1_dp_op_CI_CI,@function
bluestein_single_fwd_len306_dim1_dp_op_CI_CI: ; @bluestein_single_fwd_len306_dim1_dp_op_CI_CI
; %bb.0:
	s_load_dwordx4 s[8:11], s[0:1], 0x28
	v_mul_u32_u24_e32 v1, 0x788, v0
	v_lshrrev_b32_e32 v2, 16, v1
	v_mad_u64_u32 v[4:5], s[2:3], s2, 7, v[2:3]
	v_mov_b32_e32 v173, 0
	v_mov_b32_e32 v5, v173
	s_waitcnt lgkmcnt(0)
	v_cmp_gt_u64_e32 vcc, s[8:9], v[4:5]
	s_and_saveexec_b64 s[2:3], vcc
	s_cbranch_execz .LBB0_23
; %bb.1:
	v_mul_lo_u16_e32 v1, 34, v2
	s_mov_b32 s2, 0x24924925
	v_sub_u16_e32 v172, v0, v1
	v_mul_hi_u32 v0, v4, s2
	v_sub_u32_e32 v1, v4, v0
	v_lshrrev_b32_e32 v1, 1, v1
	v_add_u32_e32 v0, v1, v0
	s_load_dwordx2 s[8:9], s[0:1], 0x0
	s_load_dwordx2 s[12:13], s[0:1], 0x38
	v_lshrrev_b32_e32 v0, 2, v0
	v_mul_lo_u32 v0, v0, 7
	v_sub_u32_e32 v0, v4, v0
	v_mul_u32_u24_e32 v177, 0x132, v0
	v_accvgpr_write_b32 a0, v4
	v_cmp_gt_u16_e32 vcc, 18, v172
	v_lshlrev_b32_e32 v174, 4, v172
	v_lshlrev_b32_e32 v176, 4, v177
	s_and_saveexec_b64 s[14:15], vcc
	s_cbranch_execz .LBB0_3
; %bb.2:
	s_load_dwordx2 s[2:3], s[0:1], 0x18
	v_accvgpr_read_b32 v10, a0
	v_mov_b32_e32 v0, s10
	v_mov_b32_e32 v1, s11
	;; [unrolled: 1-line block ×3, first 2 shown]
	s_waitcnt lgkmcnt(0)
	s_load_dwordx4 s[4:7], s[2:3], 0x0
	v_or_b32_e32 v55, 0x120, v172
	v_lshlrev_b32_e32 v76, 4, v55
	v_mov_b32_e32 v175, 0
	v_lshl_add_u64 v[122:123], s[8:9], 0, v[174:175]
	s_waitcnt lgkmcnt(0)
	v_mad_u64_u32 v[2:3], s[2:3], s6, v10, 0
	v_mad_u64_u32 v[4:5], s[2:3], s4, v172, 0
	v_mov_b32_e32 v6, v3
	v_mov_b32_e32 v8, v5
	v_mad_u64_u32 v[6:7], s[2:3], s7, v10, v[6:7]
	v_mov_b32_e32 v3, v6
	v_mad_u64_u32 v[6:7], s[2:3], s5, v172, v[8:9]
	v_mov_b32_e32 v5, v6
	v_lshl_add_u64 v[48:49], v[2:3], 4, v[0:1]
	v_lshl_add_u64 v[50:51], v[4:5], 4, v[48:49]
	global_load_dwordx4 v[0:3], v174, s[8:9]
	global_load_dwordx4 v[4:7], v[50:51], off
	s_mul_i32 s6, s5, 0x120
	v_mad_u64_u32 v[50:51], s[2:3], s4, v53, v[50:51]
	v_add_u32_e32 v51, s6, v51
	global_load_dwordx4 v[8:11], v174, s[8:9] offset:288
	global_load_dwordx4 v[12:15], v174, s[8:9] offset:576
	global_load_dwordx4 v[16:19], v174, s[8:9] offset:864
	global_load_dwordx4 v[20:23], v174, s[8:9] offset:1152
	global_load_dwordx4 v[24:27], v174, s[8:9] offset:1440
	global_load_dwordx4 v[28:31], v174, s[8:9] offset:1728
	global_load_dwordx4 v[32:35], v174, s[8:9] offset:2016
	global_load_dwordx4 v[36:39], v174, s[8:9] offset:2304
	global_load_dwordx4 v[40:43], v174, s[8:9] offset:2592
	global_load_dwordx4 v[44:47], v174, s[8:9] offset:2880
	global_load_dwordx4 v[56:59], v174, s[8:9] offset:3168
	global_load_dwordx4 v[60:63], v174, s[8:9] offset:3456
	global_load_dwordx4 v[64:67], v[50:51], off
	v_mad_u64_u32 v[50:51], s[2:3], s4, v53, v[50:51]
	v_add_u32_e32 v51, s6, v51
	global_load_dwordx4 v[68:71], v[50:51], off
	global_load_dwordx4 v[72:75], v76, s[8:9]
	v_mad_u64_u32 v[50:51], s[2:3], s4, v53, v[50:51]
	v_add_u32_e32 v51, s6, v51
	global_load_dwordx4 v[76:79], v[50:51], off
	v_mad_u64_u32 v[50:51], s[2:3], s4, v53, v[50:51]
	v_add_u32_e32 v51, s6, v51
	global_load_dwordx4 v[80:83], v[50:51], off
	;; [unrolled: 3-line block ×12, first 2 shown]
	global_load_dwordx4 v[128:131], v174, s[8:9] offset:3744
	global_load_dwordx4 v[132:135], v174, s[8:9] offset:4032
	v_mad_u64_u32 v[50:51], s[2:3], s4, v53, v[50:51]
	s_movk_i32 s2, 0x1000
	s_nop 0
	v_add_co_u32_e64 v122, s[2:3], s2, v122
	v_add_u32_e32 v51, s6, v51
	s_nop 0
	v_addc_co_u32_e64 v123, s[2:3], 0, v123, s[2:3]
	v_mad_u64_u32 v[144:145], s[2:3], s4, v55, 0
	v_mov_b32_e32 v146, v145
	global_load_dwordx4 v[136:139], v[50:51], off
	global_load_dwordx4 v[140:143], v[122:123], off offset:224
	v_mad_u64_u32 v[50:51], s[2:3], s5, v55, v[146:147]
	v_mov_b32_e32 v145, v50
	v_lshl_add_u64 v[48:49], v[144:145], 4, v[48:49]
	global_load_dwordx4 v[48:51], v[48:49], off
	v_lshl_add_u32 v54, v172, 4, v176
	v_add_u32_e32 v52, v176, v174
	s_waitcnt vmcnt(32)
	v_mul_f64 v[120:121], v[6:7], v[2:3]
	v_mul_f64 v[2:3], v[4:5], v[2:3]
	v_fmac_f64_e32 v[120:121], v[4:5], v[0:1]
	v_fma_f64 v[122:123], v[6:7], v[0:1], -v[2:3]
	ds_write_b128 v54, v[120:123]
	s_waitcnt vmcnt(19)
	v_mul_f64 v[0:1], v[66:67], v[10:11]
	v_mul_f64 v[2:3], v[64:65], v[10:11]
	v_fmac_f64_e32 v[0:1], v[64:65], v[8:9]
	v_fma_f64 v[2:3], v[66:67], v[8:9], -v[2:3]
	ds_write_b128 v52, v[0:3] offset:288
	s_waitcnt vmcnt(18)
	v_mul_f64 v[0:1], v[70:71], v[14:15]
	v_mul_f64 v[2:3], v[68:69], v[14:15]
	v_fmac_f64_e32 v[0:1], v[68:69], v[12:13]
	v_fma_f64 v[2:3], v[70:71], v[12:13], -v[2:3]
	ds_write_b128 v52, v[0:3] offset:576
	s_waitcnt vmcnt(16)
	v_mul_f64 v[0:1], v[76:77], v[18:19]
	v_fma_f64 v[2:3], v[78:79], v[16:17], -v[0:1]
	v_mul_f64 v[0:1], v[78:79], v[18:19]
	v_fmac_f64_e32 v[0:1], v[76:77], v[16:17]
	ds_write_b128 v52, v[0:3] offset:864
	s_waitcnt vmcnt(15)
	v_mul_f64 v[0:1], v[82:83], v[22:23]
	v_mul_f64 v[2:3], v[80:81], v[22:23]
	v_fmac_f64_e32 v[0:1], v[80:81], v[20:21]
	v_fma_f64 v[2:3], v[82:83], v[20:21], -v[2:3]
	ds_write_b128 v52, v[0:3] offset:1152
	s_waitcnt vmcnt(14)
	v_mul_f64 v[0:1], v[86:87], v[26:27]
	v_mul_f64 v[2:3], v[84:85], v[26:27]
	v_fmac_f64_e32 v[0:1], v[84:85], v[24:25]
	v_fma_f64 v[2:3], v[86:87], v[24:25], -v[2:3]
	;; [unrolled: 6-line block ×13, first 2 shown]
	ds_write_b128 v52, v[0:3] offset:4608
.LBB0_3:
	s_or_b64 exec, exec, s[14:15]
	s_waitcnt lgkmcnt(0)
	s_barrier
	s_waitcnt lgkmcnt(0)
                                        ; implicit-def: $vgpr28_vgpr29
                                        ; implicit-def: $vgpr32_vgpr33
                                        ; implicit-def: $vgpr36_vgpr37
                                        ; implicit-def: $vgpr40_vgpr41
                                        ; implicit-def: $vgpr44_vgpr45
                                        ; implicit-def: $vgpr48_vgpr49
                                        ; implicit-def: $vgpr52_vgpr53
                                        ; implicit-def: $vgpr56_vgpr57
                                        ; implicit-def: $vgpr60_vgpr61
                                        ; implicit-def: $vgpr64_vgpr65
                                        ; implicit-def: $vgpr68_vgpr69
                                        ; implicit-def: $vgpr72_vgpr73
                                        ; implicit-def: $vgpr76_vgpr77
                                        ; implicit-def: $vgpr80_vgpr81
                                        ; implicit-def: $vgpr84_vgpr85
                                        ; implicit-def: $vgpr88_vgpr89
                                        ; implicit-def: $vgpr92_vgpr93
	s_and_saveexec_b64 s[2:3], vcc
	s_cbranch_execz .LBB0_5
; %bb.4:
	v_lshl_add_u32 v0, v177, 4, v174
	ds_read_b128 v[28:31], v0
	ds_read_b128 v[32:35], v0 offset:288
	ds_read_b128 v[36:39], v0 offset:576
	;; [unrolled: 1-line block ×16, first 2 shown]
.LBB0_5:
	s_or_b64 exec, exec, s[2:3]
	s_mov_b32 s38, 0x5d8e7cdc
	s_waitcnt lgkmcnt(0)
	v_add_f64 v[2:3], v[34:35], -v[94:95]
	s_mov_b32 s39, 0xbfd71e95
	s_mov_b32 s46, 0x2a9d6da3
	s_load_dwordx2 s[2:3], s[0:1], 0x20
	s_load_dwordx2 s[10:11], s[0:1], 0x8
	v_add_f64 v[0:1], v[32:33], -v[92:93]
	s_mov_b32 s0, 0x370991
	v_mul_f64 v[4:5], v[2:3], s[38:39]
	s_mov_b32 s47, 0xbfe58eea
	v_add_f64 v[106:107], v[38:39], -v[90:91]
	v_add_f64 v[130:131], v[32:33], v[92:93]
	s_mov_b32 s1, 0x3fedd6d0
	v_mul_f64 v[6:7], v[0:1], s[38:39]
	v_accvgpr_write_b32 a11, v5
	s_mov_b32 s6, 0x75d4884
	v_mul_f64 v[108:109], v[106:107], s[46:47]
	v_add_f64 v[132:133], v[34:35], v[94:95]
	v_accvgpr_write_b32 a10, v4
	v_fma_f64 v[4:5], s[0:1], v[130:131], v[4:5]
	v_accvgpr_write_b32 a13, v7
	s_mov_b32 s7, 0x3fe7a5f6
	v_add_f64 v[146:147], v[36:37], v[88:89]
	v_add_f64 v[104:105], v[36:37], -v[88:89]
	v_accvgpr_write_b32 a22, v108
	v_add_f64 v[4:5], v[28:29], v[4:5]
	v_accvgpr_write_b32 a12, v6
	v_fma_f64 v[6:7], v[132:133], s[0:1], -v[6:7]
	s_mov_b32 s40, 0xeb564b22
	v_add_f64 v[148:149], v[38:39], v[90:91]
	v_mul_f64 v[110:111], v[104:105], s[46:47]
	v_accvgpr_write_b32 a23, v109
	v_fma_f64 v[108:109], s[6:7], v[146:147], v[108:109]
	v_add_f64 v[6:7], v[30:31], v[6:7]
	v_mul_f64 v[8:9], v[2:3], s[46:47]
	s_mov_b32 s41, 0xbfefdd0d
	v_add_f64 v[4:5], v[108:109], v[4:5]
	v_fma_f64 v[108:109], v[148:149], s[6:7], -v[110:111]
	v_mul_f64 v[10:11], v[0:1], s[46:47]
	v_accvgpr_write_b32 a15, v9
	s_mov_b32 s14, 0x3259b75e
	v_add_f64 v[6:7], v[108:109], v[6:7]
	v_mul_f64 v[108:109], v[106:107], s[40:41]
	v_accvgpr_write_b32 a14, v8
	v_fma_f64 v[8:9], s[6:7], v[130:131], v[8:9]
	v_accvgpr_write_b32 a17, v11
	s_mov_b32 s34, 0x7c9e640b
	s_mov_b32 s15, 0x3fb79ee6
	v_accvgpr_write_b32 a24, v110
	v_accvgpr_write_b32 a28, v108
	v_add_f64 v[8:9], v[28:29], v[8:9]
	v_accvgpr_write_b32 a16, v10
	v_fma_f64 v[10:11], v[132:133], s[6:7], -v[10:11]
	s_mov_b32 s35, 0xbfeca52d
	s_mov_b32 s26, 0x6c9a05f6
	v_accvgpr_write_b32 a25, v111
	v_mul_f64 v[110:111], v[104:105], s[40:41]
	v_accvgpr_write_b32 a29, v109
	v_fma_f64 v[108:109], s[14:15], v[146:147], v[108:109]
	v_add_f64 v[10:11], v[30:31], v[10:11]
	s_mov_b32 s4, 0x2b2883cd
	v_mul_f64 v[12:13], v[2:3], s[34:35]
	s_mov_b32 s27, 0xbfe9895b
	v_add_f64 v[8:9], v[108:109], v[8:9]
	v_fma_f64 v[108:109], v[148:149], s[14:15], -v[110:111]
	s_mov_b32 s5, 0x3fdc86fa
	v_mul_f64 v[14:15], v[0:1], s[34:35]
	v_accvgpr_write_b32 a19, v13
	s_mov_b32 s18, 0x6ed5f1bb
	v_add_f64 v[10:11], v[108:109], v[10:11]
	v_mul_f64 v[108:109], v[106:107], s[26:27]
	v_accvgpr_write_b32 a18, v12
	v_fma_f64 v[12:13], s[4:5], v[130:131], v[12:13]
	v_accvgpr_write_b32 a21, v15
	s_mov_b32 s19, 0xbfe348c8
	v_accvgpr_write_b32 a32, v110
	v_accvgpr_write_b32 a38, v108
	v_add_f64 v[12:13], v[28:29], v[12:13]
	v_accvgpr_write_b32 a20, v14
	v_fma_f64 v[14:15], v[132:133], s[4:5], -v[14:15]
	s_mov_b32 s36, 0xacd6c6b4
	v_accvgpr_write_b32 a33, v111
	v_mul_f64 v[110:111], v[104:105], s[26:27]
	v_accvgpr_write_b32 a39, v109
	v_fma_f64 v[108:109], s[18:19], v[146:147], v[108:109]
	v_add_f64 v[14:15], v[30:31], v[14:15]
	v_mul_f64 v[16:17], v[2:3], s[40:41]
	s_mov_b32 s37, 0xbfc7851a
	v_add_f64 v[12:13], v[108:109], v[12:13]
	v_fma_f64 v[108:109], v[148:149], s[18:19], -v[110:111]
	v_mul_f64 v[18:19], v[0:1], s[40:41]
	v_accvgpr_write_b32 a27, v17
	s_mov_b32 s22, 0x7faef3
	v_add_f64 v[14:15], v[108:109], v[14:15]
	v_mul_f64 v[108:109], v[106:107], s[36:37]
	v_accvgpr_write_b32 a26, v16
	v_fma_f64 v[16:17], s[14:15], v[130:131], v[16:17]
	v_accvgpr_write_b32 a31, v19
	s_mov_b32 s24, 0x923c349f
	s_mov_b32 s23, 0xbfef7484
	v_accvgpr_write_b32 a44, v110
	v_accvgpr_write_b32 a52, v108
	v_add_f64 v[16:17], v[28:29], v[16:17]
	v_accvgpr_write_b32 a30, v18
	v_fma_f64 v[18:19], v[132:133], s[14:15], -v[18:19]
	s_mov_b32 s25, 0xbfeec746
	s_mov_b32 s30, 0x4363dd80
	v_accvgpr_write_b32 a45, v111
	v_mul_f64 v[110:111], v[104:105], s[36:37]
	v_accvgpr_write_b32 a53, v109
	v_fma_f64 v[108:109], s[22:23], v[146:147], v[108:109]
	v_add_f64 v[18:19], v[30:31], v[18:19]
	s_mov_b32 s16, 0xc61f0d01
	v_mul_f64 v[20:21], v[2:3], s[24:25]
	s_mov_b32 s31, 0xbfe0d888
	v_add_f64 v[16:17], v[108:109], v[16:17]
	v_fma_f64 v[108:109], v[148:149], s[22:23], -v[110:111]
	s_mov_b32 s53, 0x3fe0d888
	s_mov_b32 s52, s30
	s_mov_b32 s17, 0xbfd183b1
	v_mul_f64 v[22:23], v[0:1], s[24:25]
	v_accvgpr_write_b32 a35, v21
	s_mov_b32 s20, 0x910ea3b9
	v_add_f64 v[18:19], v[108:109], v[18:19]
	v_mul_f64 v[108:109], v[106:107], s[52:53]
	v_accvgpr_write_b32 a34, v20
	v_fma_f64 v[20:21], s[16:17], v[130:131], v[20:21]
	v_accvgpr_write_b32 a37, v23
	s_mov_b32 s21, 0xbfeb34fa
	v_accvgpr_write_b32 a58, v110
	v_accvgpr_write_b32 a62, v108
	v_add_f64 v[20:21], v[28:29], v[20:21]
	v_accvgpr_write_b32 a36, v22
	v_fma_f64 v[22:23], v[132:133], s[16:17], -v[22:23]
	v_accvgpr_write_b32 a59, v111
	v_mul_f64 v[110:111], v[104:105], s[52:53]
	v_accvgpr_write_b32 a63, v109
	v_fma_f64 v[108:109], s[20:21], v[146:147], v[108:109]
	v_add_f64 v[22:23], v[30:31], v[22:23]
	v_mul_f64 v[24:25], v[2:3], s[26:27]
	v_add_f64 v[20:21], v[108:109], v[20:21]
	v_fma_f64 v[108:109], v[148:149], s[20:21], -v[110:111]
	s_mov_b32 s49, 0x3feec746
	s_mov_b32 s48, s24
	v_mul_f64 v[26:27], v[0:1], s[26:27]
	v_accvgpr_write_b32 a41, v25
	v_add_f64 v[22:23], v[108:109], v[22:23]
	v_mul_f64 v[108:109], v[106:107], s[48:49]
	v_accvgpr_write_b32 a40, v24
	v_fma_f64 v[24:25], s[18:19], v[130:131], v[24:25]
	v_accvgpr_write_b32 a49, v27
	v_accvgpr_write_b32 a64, v110
	;; [unrolled: 1-line block ×3, first 2 shown]
	v_add_f64 v[24:25], v[28:29], v[24:25]
	v_accvgpr_write_b32 a48, v26
	v_fma_f64 v[26:27], v[132:133], s[18:19], -v[26:27]
	v_accvgpr_write_b32 a65, v111
	v_mul_f64 v[110:111], v[104:105], s[48:49]
	v_accvgpr_write_b32 a71, v109
	v_fma_f64 v[108:109], s[16:17], v[146:147], v[108:109]
	v_add_f64 v[26:27], v[30:31], v[26:27]
	v_mul_f64 v[96:97], v[2:3], s[30:31]
	v_add_f64 v[24:25], v[108:109], v[24:25]
	v_fma_f64 v[108:109], v[148:149], s[16:17], -v[110:111]
	s_mov_b32 s29, 0x3feca52d
	s_mov_b32 s28, s34
	v_mul_f64 v[98:99], v[0:1], s[30:31]
	v_accvgpr_write_b32 a56, v96
	v_add_f64 v[26:27], v[108:109], v[26:27]
	v_mul_f64 v[108:109], v[106:107], s[28:29]
	v_accvgpr_write_b32 a57, v97
	v_fma_f64 v[96:97], s[20:21], v[130:131], v[96:97]
	v_accvgpr_write_b32 a60, v98
	v_accvgpr_write_b32 a76, v110
	;; [unrolled: 1-line block ×3, first 2 shown]
	v_add_f64 v[96:97], v[28:29], v[96:97]
	v_accvgpr_write_b32 a61, v99
	v_fma_f64 v[98:99], v[132:133], s[20:21], -v[98:99]
	v_mul_f64 v[2:3], v[2:3], s[36:37]
	v_accvgpr_write_b32 a77, v111
	v_mul_f64 v[110:111], v[104:105], s[28:29]
	v_accvgpr_write_b32 a85, v109
	v_fma_f64 v[108:109], s[4:5], v[146:147], v[108:109]
	s_mov_b32 s45, 0x3fd71e95
	s_mov_b32 s44, s38
	v_add_f64 v[98:99], v[30:31], v[98:99]
	v_fma_f64 v[100:101], v[130:131], s[22:23], -v[2:3]
	v_mul_f64 v[0:1], v[0:1], s[36:37]
	v_fmac_f64_e32 v[2:3], s[22:23], v[130:131]
	v_add_f64 v[96:97], v[108:109], v[96:97]
	v_fma_f64 v[108:109], v[148:149], s[4:5], -v[110:111]
	v_mul_f64 v[106:107], v[106:107], s[44:45]
	v_add_f64 v[100:101], v[28:29], v[100:101]
	v_fma_f64 v[102:103], s[22:23], v[132:133], v[0:1]
	v_add_f64 v[2:3], v[28:29], v[2:3]
	v_add_f64 v[98:99], v[108:109], v[98:99]
	v_fma_f64 v[108:109], v[146:147], s[0:1], -v[106:107]
	v_mul_f64 v[104:105], v[104:105], s[44:45]
	v_fmac_f64_e32 v[106:107], s[0:1], v[146:147]
	v_add_f64 v[102:103], v[30:31], v[102:103]
	v_fma_f64 v[0:1], v[132:133], s[22:23], -v[0:1]
	v_add_f64 v[100:101], v[108:109], v[100:101]
	v_fma_f64 v[108:109], s[0:1], v[148:149], v[104:105]
	v_add_f64 v[2:3], v[106:107], v[2:3]
	v_add_f64 v[106:107], v[42:43], -v[86:87]
	v_add_f64 v[0:1], v[30:31], v[0:1]
	v_add_f64 v[102:103], v[108:109], v[102:103]
	v_fma_f64 v[104:105], v[148:149], s[0:1], -v[104:105]
	v_mul_f64 v[108:109], v[106:107], s[34:35]
	v_accvgpr_write_b32 a88, v110
	v_add_f64 v[0:1], v[104:105], v[0:1]
	v_add_f64 v[166:167], v[40:41], v[84:85]
	v_add_f64 v[104:105], v[40:41], -v[84:85]
	v_accvgpr_write_b32 a42, v108
	v_accvgpr_write_b32 a89, v111
	v_add_f64 v[168:169], v[42:43], v[86:87]
	v_mul_f64 v[110:111], v[104:105], s[34:35]
	v_accvgpr_write_b32 a43, v109
	v_fma_f64 v[108:109], s[4:5], v[166:167], v[108:109]
	v_add_f64 v[4:5], v[108:109], v[4:5]
	v_fma_f64 v[108:109], v[168:169], s[4:5], -v[110:111]
	v_add_f64 v[6:7], v[108:109], v[6:7]
	v_mul_f64 v[108:109], v[106:107], s[26:27]
	v_accvgpr_write_b32 a46, v110
	v_accvgpr_write_b32 a50, v108
	;; [unrolled: 1-line block ×3, first 2 shown]
	v_mul_f64 v[110:111], v[104:105], s[26:27]
	v_accvgpr_write_b32 a51, v109
	v_fma_f64 v[108:109], s[18:19], v[166:167], v[108:109]
	v_add_f64 v[8:9], v[108:109], v[8:9]
	v_fma_f64 v[108:109], v[168:169], s[18:19], -v[110:111]
	s_mov_b32 s43, 0x3fc7851a
	s_mov_b32 s42, s36
	v_add_f64 v[10:11], v[108:109], v[10:11]
	v_mul_f64 v[108:109], v[106:107], s[42:43]
	v_accvgpr_write_b32 a54, v110
	v_accvgpr_write_b32 a66, v108
	v_accvgpr_write_b32 a55, v111
	v_mul_f64 v[110:111], v[104:105], s[42:43]
	v_accvgpr_write_b32 a67, v109
	v_fma_f64 v[108:109], s[22:23], v[166:167], v[108:109]
	v_add_f64 v[12:13], v[108:109], v[12:13]
	v_fma_f64 v[108:109], v[168:169], s[22:23], -v[110:111]
	v_add_f64 v[14:15], v[108:109], v[14:15]
	v_mul_f64 v[108:109], v[106:107], s[48:49]
	v_accvgpr_write_b32 a74, v110
	v_accvgpr_write_b32 a80, v108
	;; [unrolled: 1-line block ×3, first 2 shown]
	v_mul_f64 v[110:111], v[104:105], s[48:49]
	v_accvgpr_write_b32 a81, v109
	v_fma_f64 v[108:109], s[16:17], v[166:167], v[108:109]
	v_add_f64 v[16:17], v[108:109], v[16:17]
	v_fma_f64 v[108:109], v[168:169], s[16:17], -v[110:111]
	s_mov_b32 s43, 0x3fe58eea
	s_mov_b32 s42, s46
	v_add_f64 v[18:19], v[108:109], v[18:19]
	v_mul_f64 v[108:109], v[106:107], s[42:43]
	v_accvgpr_write_b32 a86, v110
	v_accvgpr_write_b32 a90, v108
	v_accvgpr_write_b32 a87, v111
	v_mul_f64 v[110:111], v[104:105], s[42:43]
	v_accvgpr_write_b32 a91, v109
	v_fma_f64 v[108:109], s[6:7], v[166:167], v[108:109]
	v_add_f64 v[20:21], v[108:109], v[20:21]
	v_fma_f64 v[108:109], v[168:169], s[6:7], -v[110:111]
	v_add_f64 v[22:23], v[108:109], v[22:23]
	v_mul_f64 v[108:109], v[106:107], s[38:39]
	v_accvgpr_write_b32 a92, v110
	v_accvgpr_write_b32 a98, v108
	v_accvgpr_write_b32 a93, v111
	v_mul_f64 v[110:111], v[104:105], s[38:39]
	v_accvgpr_write_b32 a99, v109
	v_fma_f64 v[108:109], s[0:1], v[166:167], v[108:109]
	v_add_f64 v[24:25], v[108:109], v[24:25]
	v_fma_f64 v[108:109], v[168:169], s[0:1], -v[110:111]
	;; [unrolled: 10-line block ×3, first 2 shown]
	v_mul_f64 v[106:107], v[106:107], s[30:31]
	v_add_f64 v[98:99], v[108:109], v[98:99]
	v_fma_f64 v[108:109], v[166:167], s[20:21], -v[106:107]
	v_mul_f64 v[104:105], v[104:105], s[30:31]
	v_fmac_f64_e32 v[106:107], s[20:21], v[166:167]
	v_add_f64 v[100:101], v[108:109], v[100:101]
	v_fma_f64 v[108:109], s[20:21], v[168:169], v[104:105]
	v_add_f64 v[2:3], v[106:107], v[2:3]
	v_add_f64 v[106:107], v[46:47], -v[82:83]
	v_add_f64 v[102:103], v[108:109], v[102:103]
	v_fma_f64 v[104:105], v[168:169], s[20:21], -v[104:105]
	v_mul_f64 v[108:109], v[106:107], s[40:41]
	v_accvgpr_write_b32 a117, v111
	v_add_f64 v[0:1], v[104:105], v[0:1]
	v_add_f64 v[202:203], v[44:45], v[80:81]
	v_add_f64 v[104:105], v[44:45], -v[80:81]
	v_accvgpr_write_b32 a68, v108
	v_accvgpr_write_b32 a116, v110
	v_add_f64 v[204:205], v[46:47], v[82:83]
	v_mul_f64 v[110:111], v[104:105], s[40:41]
	v_accvgpr_write_b32 a69, v109
	v_fma_f64 v[108:109], s[14:15], v[202:203], v[108:109]
	v_add_f64 v[4:5], v[108:109], v[4:5]
	v_fma_f64 v[108:109], v[204:205], s[14:15], -v[110:111]
	v_add_f64 v[6:7], v[108:109], v[6:7]
	v_mul_f64 v[108:109], v[106:107], s[36:37]
	v_accvgpr_write_b32 a72, v110
	v_accvgpr_write_b32 a78, v108
	v_accvgpr_write_b32 a73, v111
	v_mul_f64 v[110:111], v[104:105], s[36:37]
	v_accvgpr_write_b32 a79, v109
	v_fma_f64 v[108:109], s[22:23], v[202:203], v[108:109]
	v_add_f64 v[8:9], v[108:109], v[8:9]
	v_fma_f64 v[108:109], v[204:205], s[22:23], -v[110:111]
	v_add_f64 v[10:11], v[108:109], v[10:11]
	v_mul_f64 v[108:109], v[106:107], s[48:49]
	v_accvgpr_write_b32 a82, v110
	v_accvgpr_write_b32 a94, v108
	v_accvgpr_write_b32 a83, v111
	;; [unrolled: 10-line block ×5, first 2 shown]
	v_mul_f64 v[110:111], v[104:105], s[30:31]
	v_accvgpr_write_b32 a124, v108
	v_fma_f64 v[108:109], s[20:21], v[202:203], v[108:109]
	s_mov_b32 s51, 0x3fe9895b
	s_mov_b32 s50, s26
	v_add_f64 v[24:25], v[108:109], v[24:25]
	v_fma_f64 v[108:109], v[204:205], s[20:21], -v[110:111]
	v_mul_f64 v[120:121], v[106:107], s[50:51]
	v_add_f64 v[26:27], v[108:109], v[26:27]
	v_mul_f64 v[126:127], v[104:105], s[50:51]
	v_fma_f64 v[108:109], s[18:19], v[202:203], v[120:121]
	v_add_f64 v[96:97], v[108:109], v[96:97]
	v_fma_f64 v[108:109], v[204:205], s[18:19], -v[126:127]
	v_mul_f64 v[106:107], v[106:107], s[42:43]
	v_add_f64 v[98:99], v[108:109], v[98:99]
	v_fma_f64 v[108:109], v[202:203], s[6:7], -v[106:107]
	v_mul_f64 v[104:105], v[104:105], s[42:43]
	v_fmac_f64_e32 v[106:107], s[6:7], v[202:203]
	v_add_f64 v[100:101], v[108:109], v[100:101]
	v_fma_f64 v[108:109], s[6:7], v[204:205], v[104:105]
	v_add_f64 v[2:3], v[106:107], v[2:3]
	v_add_f64 v[106:107], v[50:51], -v[78:79]
	v_add_f64 v[102:103], v[108:109], v[102:103]
	v_fma_f64 v[104:105], v[204:205], s[6:7], -v[104:105]
	v_mul_f64 v[108:109], v[106:107], s[24:25]
	v_accvgpr_write_b32 a129, v111
	v_add_f64 v[0:1], v[104:105], v[0:1]
	v_add_f64 v[234:235], v[48:49], v[76:77]
	v_add_f64 v[104:105], v[48:49], -v[76:77]
	v_accvgpr_write_b32 a96, v108
	v_accvgpr_write_b32 a128, v110
	v_add_f64 v[236:237], v[50:51], v[78:79]
	v_mul_f64 v[110:111], v[104:105], s[24:25]
	v_accvgpr_write_b32 a97, v109
	v_fma_f64 v[108:109], s[16:17], v[234:235], v[108:109]
	v_add_f64 v[4:5], v[108:109], v[4:5]
	v_fma_f64 v[108:109], v[236:237], s[16:17], -v[110:111]
	v_add_f64 v[6:7], v[108:109], v[6:7]
	v_mul_f64 v[108:109], v[106:107], s[52:53]
	v_accvgpr_write_b32 a100, v110
	v_accvgpr_write_b32 a106, v108
	;; [unrolled: 1-line block ×3, first 2 shown]
	v_mul_f64 v[110:111], v[104:105], s[52:53]
	v_accvgpr_write_b32 a107, v109
	v_fma_f64 v[108:109], s[20:21], v[234:235], v[108:109]
	v_add_f64 v[8:9], v[108:109], v[8:9]
	v_fma_f64 v[108:109], v[236:237], s[20:21], -v[110:111]
	v_add_f64 v[10:11], v[108:109], v[10:11]
	v_mul_f64 v[108:109], v[106:107], s[42:43]
	v_accvgpr_write_b32 a123, v109
	v_mul_f64 v[252:253], v[104:105], s[42:43]
	v_accvgpr_write_b32 a122, v108
	v_fma_f64 v[108:109], s[6:7], v[234:235], v[108:109]
	v_add_f64 v[12:13], v[108:109], v[12:13]
	v_fma_f64 v[108:109], v[236:237], s[6:7], -v[252:253]
	v_mul_f64 v[122:123], v[106:107], s[34:35]
	v_add_f64 v[14:15], v[108:109], v[14:15]
	v_mul_f64 v[128:129], v[104:105], s[34:35]
	v_fma_f64 v[108:109], s[4:5], v[234:235], v[122:123]
	v_add_f64 v[16:17], v[108:109], v[16:17]
	v_fma_f64 v[108:109], v[236:237], s[4:5], -v[128:129]
	v_mul_f64 v[138:139], v[106:107], s[36:37]
	v_add_f64 v[18:19], v[108:109], v[18:19]
	v_mul_f64 v[116:117], v[104:105], s[36:37]
	v_fma_f64 v[108:109], s[22:23], v[234:235], v[138:139]
	s_mov_b32 s35, 0x3fefdd0d
	s_mov_b32 s34, s40
	v_add_f64 v[20:21], v[108:109], v[20:21]
	v_fma_f64 v[108:109], v[236:237], s[22:23], -v[116:117]
	v_mul_f64 v[118:119], v[106:107], s[34:35]
	v_add_f64 v[22:23], v[108:109], v[22:23]
	v_mul_f64 v[112:113], v[104:105], s[34:35]
	v_fma_f64 v[108:109], s[14:15], v[234:235], v[118:119]
	v_accvgpr_write_b32 a110, v110
	v_add_f64 v[24:25], v[108:109], v[24:25]
	v_fma_f64 v[108:109], v[236:237], s[14:15], -v[112:113]
	v_mul_f64 v[114:115], v[106:107], s[38:39]
	v_accvgpr_write_b32 a111, v111
	v_add_f64 v[26:27], v[108:109], v[26:27]
	v_mul_f64 v[108:109], v[104:105], s[38:39]
	v_fma_f64 v[110:111], s[0:1], v[234:235], v[114:115]
	v_add_f64 v[96:97], v[110:111], v[96:97]
	v_fma_f64 v[110:111], v[236:237], s[0:1], -v[108:109]
	v_mul_f64 v[106:107], v[106:107], s[26:27]
	v_add_f64 v[98:99], v[110:111], v[98:99]
	v_fma_f64 v[110:111], v[234:235], s[18:19], -v[106:107]
	v_mul_f64 v[104:105], v[104:105], s[26:27]
	v_add_f64 v[100:101], v[110:111], v[100:101]
	v_fma_f64 v[110:111], s[18:19], v[236:237], v[104:105]
	v_fma_f64 v[104:105], v[236:237], s[18:19], -v[104:105]
	v_add_f64 v[144:145], v[54:55], -v[74:75]
	v_add_f64 v[0:1], v[104:105], v[0:1]
	v_mul_f64 v[104:105], v[144:145], s[26:27]
	v_add_f64 v[134:135], v[52:53], v[72:73]
	v_add_f64 v[142:143], v[52:53], -v[72:73]
	v_accvgpr_write_b32 a127, v105
	v_add_f64 v[136:137], v[54:55], v[74:75]
	v_mul_f64 v[250:251], v[142:143], s[26:27]
	v_accvgpr_write_b32 a126, v104
	v_fma_f64 v[104:105], s[18:19], v[134:135], v[104:105]
	v_add_f64 v[4:5], v[104:105], v[4:5]
	v_fma_f64 v[104:105], v[136:137], s[18:19], -v[250:251]
	v_mul_f64 v[254:255], v[144:145], s[48:49]
	v_add_f64 v[6:7], v[104:105], v[6:7]
	v_mul_f64 v[124:125], v[142:143], s[48:49]
	v_fma_f64 v[104:105], s[16:17], v[134:135], v[254:255]
	v_add_f64 v[8:9], v[104:105], v[8:9]
	v_fma_f64 v[104:105], v[136:137], s[16:17], -v[124:125]
	v_mul_f64 v[140:141], v[144:145], s[38:39]
	v_add_f64 v[10:11], v[104:105], v[10:11]
	v_mul_f64 v[150:151], v[142:143], s[38:39]
	;; [unrolled: 6-line block ×4, first 2 shown]
	v_fma_f64 v[104:105], s[14:15], v[134:135], v[164:165]
	v_add_f64 v[102:103], v[110:111], v[102:103]
	v_add_f64 v[20:21], v[104:105], v[20:21]
	v_fma_f64 v[104:105], v[136:137], s[14:15], -v[170:171]
	v_mul_f64 v[110:111], v[144:145], s[46:47]
	v_add_f64 v[22:23], v[104:105], v[22:23]
	v_mul_f64 v[184:185], v[142:143], s[46:47]
	v_fma_f64 v[104:105], s[6:7], v[134:135], v[110:111]
	v_add_f64 v[24:25], v[104:105], v[24:25]
	v_fma_f64 v[104:105], v[136:137], s[6:7], -v[184:185]
	v_fmac_f64_e32 v[106:107], s[18:19], v[234:235]
	v_add_f64 v[26:27], v[104:105], v[26:27]
	v_mul_f64 v[104:105], v[144:145], s[36:37]
	v_add_f64 v[2:3], v[106:107], v[2:3]
	v_mul_f64 v[106:107], v[142:143], s[36:37]
	v_fma_f64 v[152:153], s[22:23], v[134:135], v[104:105]
	v_add_f64 v[96:97], v[152:153], v[96:97]
	v_fma_f64 v[152:153], v[136:137], s[22:23], -v[106:107]
	v_mul_f64 v[144:145], v[144:145], s[28:29]
	v_add_f64 v[98:99], v[152:153], v[98:99]
	v_fma_f64 v[152:153], v[134:135], s[4:5], -v[144:145]
	v_mul_f64 v[142:143], v[142:143], s[28:29]
	v_add_f64 v[100:101], v[152:153], v[100:101]
	v_fma_f64 v[152:153], s[4:5], v[136:137], v[142:143]
	v_fma_f64 v[142:143], v[136:137], s[4:5], -v[142:143]
	v_add_f64 v[182:183], v[58:59], -v[70:71]
	v_fmac_f64_e32 v[144:145], s[4:5], v[134:135]
	v_add_f64 v[0:1], v[142:143], v[0:1]
	v_add_f64 v[158:159], v[56:57], v[68:69]
	v_add_f64 v[180:181], v[56:57], -v[68:69]
	v_mul_f64 v[142:143], v[182:183], s[30:31]
	v_add_f64 v[102:103], v[152:153], v[102:103]
	v_add_f64 v[2:3], v[144:145], v[2:3]
	;; [unrolled: 1-line block ×3, first 2 shown]
	v_mul_f64 v[144:145], v[180:181], s[30:31]
	v_fma_f64 v[152:153], s[20:21], v[158:159], v[142:143]
	v_add_f64 v[4:5], v[152:153], v[4:5]
	v_fma_f64 v[152:153], v[160:161], s[20:21], -v[144:145]
	v_add_f64 v[6:7], v[152:153], v[6:7]
	v_mul_f64 v[152:153], v[182:183], s[28:29]
	v_mul_f64 v[156:157], v[180:181], s[28:29]
	v_fma_f64 v[178:179], s[4:5], v[158:159], v[152:153]
	v_add_f64 v[214:215], v[178:179], v[8:9]
	v_fma_f64 v[8:9], v[160:161], s[4:5], -v[156:157]
	v_mul_f64 v[178:179], v[182:183], s[40:41]
	v_add_f64 v[218:219], v[8:9], v[10:11]
	v_mul_f64 v[186:187], v[180:181], s[40:41]
	v_fma_f64 v[8:9], s[14:15], v[158:159], v[178:179]
	v_mul_f64 v[192:193], v[182:183], s[50:51]
	v_add_f64 v[8:9], v[8:9], v[12:13]
	v_fma_f64 v[10:11], v[160:161], s[14:15], -v[186:187]
	v_mul_f64 v[196:197], v[180:181], s[50:51]
	v_fma_f64 v[12:13], s[18:19], v[158:159], v[192:193]
	v_mul_f64 v[198:199], v[182:183], s[38:39]
	v_add_f64 v[10:11], v[10:11], v[14:15]
	v_add_f64 v[12:13], v[12:13], v[16:17]
	v_fma_f64 v[14:15], v[160:161], s[18:19], -v[196:197]
	v_mul_f64 v[206:207], v[180:181], s[38:39]
	v_fma_f64 v[16:17], s[0:1], v[158:159], v[198:199]
	v_mul_f64 v[208:209], v[182:183], s[36:37]
	v_add_f64 v[14:15], v[14:15], v[18:19]
	;; [unrolled: 6-line block ×4, first 2 shown]
	v_add_f64 v[246:247], v[24:25], v[96:97]
	v_fma_f64 v[26:27], v[160:161], s[6:7], -v[216:217]
	v_fma_f64 v[96:97], v[158:159], s[16:17], -v[182:183]
	v_mul_f64 v[180:181], v[180:181], s[24:25]
	v_fmac_f64_e32 v[182:183], s[16:17], v[158:159]
	v_add_f64 v[226:227], v[62:63], -v[66:67]
	v_add_f64 v[26:27], v[26:27], v[98:99]
	v_add_f64 v[96:97], v[96:97], v[100:101]
	v_fma_f64 v[98:99], s[16:17], v[160:161], v[180:181]
	v_add_f64 v[100:101], v[182:183], v[2:3]
	v_fma_f64 v[2:3], v[160:161], s[16:17], -v[180:181]
	v_add_f64 v[188:189], v[60:61], v[64:65]
	v_add_f64 v[224:225], v[60:61], -v[64:65]
	v_mul_f64 v[180:181], v[226:227], s[36:37]
	v_add_f64 v[98:99], v[98:99], v[102:103]
	v_add_f64 v[102:103], v[2:3], v[0:1]
	;; [unrolled: 1-line block ×3, first 2 shown]
	v_mul_f64 v[182:183], v[224:225], s[36:37]
	v_fma_f64 v[0:1], s[22:23], v[188:189], v[180:181]
	v_mul_f64 v[194:195], v[226:227], s[44:45]
	v_add_f64 v[0:1], v[0:1], v[4:5]
	v_fma_f64 v[2:3], v[190:191], s[22:23], -v[182:183]
	v_mul_f64 v[200:201], v[224:225], s[44:45]
	v_fma_f64 v[4:5], s[0:1], v[188:189], v[194:195]
	v_add_f64 v[2:3], v[2:3], v[6:7]
	v_add_f64 v[4:5], v[4:5], v[214:215]
	v_fma_f64 v[6:7], v[190:191], s[0:1], -v[200:201]
	v_mul_f64 v[214:215], v[226:227], s[30:31]
	v_add_f64 v[6:7], v[6:7], v[218:219]
	v_mul_f64 v[218:219], v[224:225], s[30:31]
	v_fma_f64 v[220:221], s[20:21], v[188:189], v[214:215]
	v_add_f64 v[242:243], v[220:221], v[8:9]
	v_fma_f64 v[220:221], v[190:191], s[20:21], -v[218:219]
	v_add_f64 v[244:245], v[220:221], v[10:11]
	v_mul_f64 v[220:221], v[226:227], s[42:43]
	v_mul_f64 v[222:223], v[224:225], s[42:43]
	v_fma_f64 v[228:229], s[6:7], v[188:189], v[220:221]
	v_add_f64 v[22:23], v[228:229], v[12:13]
	v_fma_f64 v[228:229], v[190:191], s[6:7], -v[222:223]
	v_add_f64 v[24:25], v[228:229], v[14:15]
	v_mul_f64 v[228:229], v[226:227], s[26:27]
	v_mov_b64_e32 v[12:13], v[2:3]
	v_mul_f64 v[230:231], v[224:225], s[26:27]
	v_fma_f64 v[232:233], s[18:19], v[188:189], v[228:229]
	v_mov_b64_e32 v[10:11], v[0:1]
	v_add_f64 v[0:1], v[232:233], v[16:17]
	v_fma_f64 v[232:233], v[190:191], s[18:19], -v[230:231]
	v_add_f64 v[2:3], v[232:233], v[18:19]
	v_mul_f64 v[232:233], v[226:227], s[28:29]
	v_mov_b64_e32 v[16:17], v[6:7]
	v_mul_f64 v[238:239], v[224:225], s[28:29]
	v_fma_f64 v[240:241], s[4:5], v[188:189], v[232:233]
	v_mov_b64_e32 v[14:15], v[4:5]
	v_add_f64 v[4:5], v[240:241], v[20:21]
	v_fma_f64 v[240:241], v[190:191], s[4:5], -v[238:239]
	v_mov_b64_e32 v[18:19], v[242:243]
	v_add_f64 v[6:7], v[240:241], v[248:249]
	v_mul_f64 v[240:241], v[226:227], s[24:25]
	v_mov_b64_e32 v[20:21], v[244:245]
	v_accvgpr_write_b32 a2, v4
	v_mul_f64 v[242:243], v[224:225], s[24:25]
	v_fma_f64 v[244:245], s[16:17], v[188:189], v[240:241]
	v_accvgpr_write_b32 a3, v5
	v_accvgpr_write_b32 a4, v6
	;; [unrolled: 1-line block ×3, first 2 shown]
	v_add_f64 v[4:5], v[244:245], v[246:247]
	v_fma_f64 v[244:245], v[190:191], s[16:17], -v[242:243]
	v_mul_f64 v[226:227], v[226:227], s[34:35]
	v_add_f64 v[6:7], v[244:245], v[26:27]
	v_fma_f64 v[244:245], v[188:189], s[14:15], -v[226:227]
	v_mul_f64 v[224:225], v[224:225], s[34:35]
	v_mov_b64_e32 v[248:249], v[2:3]
	v_accvgpr_write_b32 a9, v7
	v_add_f64 v[96:97], v[244:245], v[96:97]
	v_fma_f64 v[244:245], s[14:15], v[190:191], v[224:225]
	v_fmac_f64_e32 v[226:227], s[14:15], v[188:189]
	v_fma_f64 v[224:225], v[190:191], s[14:15], -v[224:225]
	v_mov_b64_e32 v[246:247], v[0:1]
	v_accvgpr_write_b32 a8, v6
	v_accvgpr_write_b32 a7, v5
	;; [unrolled: 1-line block ×3, first 2 shown]
	v_add_f64 v[98:99], v[244:245], v[98:99]
	v_add_f64 v[100:101], v[226:227], v[100:101]
	;; [unrolled: 1-line block ×3, first 2 shown]
	v_mul_lo_u16_e32 v9, 17, v172
	s_waitcnt lgkmcnt(0)
	s_barrier
	s_and_saveexec_b64 s[24:25], vcc
	s_cbranch_execz .LBB0_7
; %bb.6:
	v_mul_f64 v[226:227], v[160:161], s[6:7]
	v_add_f64 v[216:217], v[216:217], v[226:227]
	v_mul_f64 v[226:227], v[136:137], s[22:23]
	v_add_f64 v[106:107], v[106:107], v[226:227]
	;; [unrolled: 2-line block ×3, first 2 shown]
	v_mul_f64 v[226:227], v[204:205], s[18:19]
	v_accvgpr_read_b32 v0, a116
	v_add_f64 v[126:127], v[126:127], v[226:227]
	v_mul_f64 v[226:227], v[168:169], s[14:15]
	v_accvgpr_read_b32 v1, a117
	v_mul_f64 v[224:225], v[190:191], s[16:17]
	v_add_f64 v[226:227], v[0:1], v[226:227]
	v_accvgpr_read_b32 v0, a88
	v_add_f64 v[224:225], v[242:243], v[224:225]
	v_mul_f64 v[242:243], v[148:149], s[4:5]
	v_accvgpr_read_b32 v1, a89
	v_add_f64 v[242:243], v[0:1], v[242:243]
	v_accvgpr_read_b32 v0, a60
	v_mul_f64 v[244:245], v[132:133], s[20:21]
	v_accvgpr_read_b32 v1, a61
	v_add_f64 v[244:245], v[0:1], v[244:245]
	v_add_f64 v[244:245], v[30:31], v[244:245]
	;; [unrolled: 1-line block ×6, first 2 shown]
	v_mul_f64 v[126:127], v[158:159], s[6:7]
	v_add_f64 v[126:127], v[126:127], -v[212:213]
	v_mul_f64 v[212:213], v[134:135], s[22:23]
	v_add_f64 v[104:105], v[212:213], -v[104:105]
	;; [unrolled: 2-line block ×3, first 2 shown]
	v_mul_f64 v[212:213], v[202:203], s[18:19]
	v_accvgpr_read_b32 v0, a112
	v_add_f64 v[120:121], v[212:213], -v[120:121]
	v_mul_f64 v[212:213], v[166:167], s[14:15]
	v_accvgpr_read_b32 v1, a113
	v_add_f64 v[106:107], v[106:107], v[108:109]
	v_add_f64 v[212:213], v[212:213], -v[0:1]
	v_accvgpr_read_b32 v0, a84
	v_add_f64 v[106:107], v[216:217], v[106:107]
	v_mul_f64 v[216:217], v[146:147], s[4:5]
	v_accvgpr_read_b32 v1, a85
	v_add_f64 v[216:217], v[216:217], -v[0:1]
	v_accvgpr_read_b32 v0, a56
	v_mul_f64 v[226:227], v[130:131], s[20:21]
	v_accvgpr_read_b32 v1, a57
	v_add_f64 v[226:227], v[226:227], -v[0:1]
	v_add_f64 v[226:227], v[28:29], v[226:227]
	v_add_f64 v[216:217], v[216:217], v[226:227]
	;; [unrolled: 1-line block ×7, first 2 shown]
	v_mul_f64 v[126:127], v[236:237], s[14:15]
	v_accvgpr_read_b32 v0, a128
	v_add_f64 v[112:113], v[112:113], v[126:127]
	v_mul_f64 v[126:127], v[204:205], s[20:21]
	v_accvgpr_read_b32 v1, a129
	v_mul_f64 v[120:121], v[136:137], s[6:7]
	v_add_f64 v[126:127], v[0:1], v[126:127]
	v_accvgpr_read_b32 v0, a104
	v_add_f64 v[120:121], v[184:185], v[120:121]
	v_mul_f64 v[184:185], v[168:169], s[0:1]
	v_accvgpr_read_b32 v1, a105
	v_mul_f64 v[114:115], v[160:161], s[22:23]
	v_add_f64 v[184:185], v[0:1], v[184:185]
	v_accvgpr_read_b32 v0, a76
	v_add_f64 v[114:115], v[210:211], v[114:115]
	v_mul_f64 v[210:211], v[148:149], s[16:17]
	v_accvgpr_read_b32 v1, a77
	v_add_f64 v[210:211], v[0:1], v[210:211]
	v_accvgpr_read_b32 v0, a48
	v_mul_f64 v[212:213], v[132:133], s[18:19]
	v_accvgpr_read_b32 v1, a49
	v_add_f64 v[212:213], v[0:1], v[212:213]
	v_add_f64 v[212:213], v[30:31], v[212:213]
	;; [unrolled: 1-line block ×6, first 2 shown]
	v_mul_f64 v[126:127], v[134:135], s[6:7]
	v_add_f64 v[110:111], v[126:127], -v[110:111]
	v_mul_f64 v[126:127], v[234:235], s[14:15]
	v_accvgpr_read_b32 v0, a124
	v_add_f64 v[118:119], v[126:127], -v[118:119]
	v_mul_f64 v[126:127], v[202:203], s[20:21]
	v_accvgpr_read_b32 v1, a125
	v_add_f64 v[126:127], v[126:127], -v[0:1]
	v_accvgpr_read_b32 v0, a98
	v_mul_f64 v[184:185], v[166:167], s[0:1]
	v_accvgpr_read_b32 v1, a99
	v_add_f64 v[112:113], v[120:121], v[112:113]
	v_mul_f64 v[120:121], v[158:159], s[22:23]
	v_add_f64 v[184:185], v[184:185], -v[0:1]
	v_accvgpr_read_b32 v0, a70
	v_add_f64 v[120:121], v[120:121], -v[208:209]
	v_mul_f64 v[208:209], v[146:147], s[16:17]
	v_accvgpr_read_b32 v1, a71
	v_add_f64 v[208:209], v[208:209], -v[0:1]
	v_accvgpr_read_b32 v0, a40
	v_mul_f64 v[210:211], v[130:131], s[18:19]
	v_accvgpr_read_b32 v1, a41
	v_add_f64 v[210:211], v[210:211], -v[0:1]
	v_add_f64 v[210:211], v[28:29], v[210:211]
	v_add_f64 v[208:209], v[208:209], v[210:211]
	;; [unrolled: 1-line block ×6, first 2 shown]
	v_mul_f64 v[108:109], v[188:189], s[16:17]
	v_add_f64 v[118:119], v[120:121], v[110:111]
	v_mul_f64 v[120:121], v[236:237], s[22:23]
	v_accvgpr_read_b32 v0, a120
	v_add_f64 v[108:109], v[108:109], -v[240:241]
	v_add_f64 v[116:117], v[116:117], v[120:121]
	v_mul_f64 v[120:121], v[204:205], s[4:5]
	v_accvgpr_read_b32 v1, a121
	v_add_f64 v[104:105], v[108:109], v[104:105]
	v_mul_f64 v[108:109], v[190:191], s[4:5]
	v_add_f64 v[112:113], v[114:115], v[112:113]
	v_mul_f64 v[114:115], v[188:189], s[4:5]
	v_add_f64 v[120:121], v[0:1], v[120:121]
	v_accvgpr_read_b32 v0, a92
	v_add_f64 v[108:109], v[238:239], v[108:109]
	v_add_f64 v[114:115], v[114:115], -v[232:233]
	v_mul_f64 v[126:127], v[168:169], s[6:7]
	v_accvgpr_read_b32 v1, a93
	v_add_f64 v[110:111], v[108:109], v[112:113]
	v_add_f64 v[108:109], v[114:115], v[118:119]
	v_mul_f64 v[118:119], v[136:137], s[14:15]
	v_add_f64 v[126:127], v[0:1], v[126:127]
	v_accvgpr_read_b32 v0, a64
	v_add_f64 v[118:119], v[170:171], v[118:119]
	v_mul_f64 v[170:171], v[148:149], s[20:21]
	v_accvgpr_read_b32 v1, a65
	v_add_f64 v[170:171], v[0:1], v[170:171]
	v_accvgpr_read_b32 v0, a36
	v_mul_f64 v[184:185], v[132:133], s[16:17]
	v_accvgpr_read_b32 v1, a37
	v_add_f64 v[184:185], v[0:1], v[184:185]
	v_add_f64 v[184:185], v[30:31], v[184:185]
	;; [unrolled: 1-line block ×5, first 2 shown]
	v_mul_f64 v[126:127], v[234:235], s[22:23]
	v_accvgpr_read_b32 v0, a118
	v_add_f64 v[126:127], v[126:127], -v[138:139]
	v_mul_f64 v[138:139], v[202:203], s[4:5]
	v_accvgpr_read_b32 v1, a119
	v_add_f64 v[116:117], v[116:117], v[120:121]
	v_mul_f64 v[120:121], v[134:135], s[14:15]
	v_add_f64 v[138:139], v[138:139], -v[0:1]
	v_accvgpr_read_b32 v0, a90
	v_add_f64 v[120:121], v[120:121], -v[164:165]
	v_mul_f64 v[164:165], v[166:167], s[6:7]
	v_accvgpr_read_b32 v1, a91
	v_add_f64 v[164:165], v[164:165], -v[0:1]
	v_accvgpr_read_b32 v0, a62
	v_mul_f64 v[170:171], v[146:147], s[20:21]
	v_accvgpr_read_b32 v1, a63
	v_add_f64 v[170:171], v[170:171], -v[0:1]
	v_accvgpr_read_b32 v0, a34
	v_mul_f64 v[184:185], v[130:131], s[16:17]
	v_accvgpr_read_b32 v1, a35
	v_add_f64 v[184:185], v[184:185], -v[0:1]
	v_add_f64 v[184:185], v[28:29], v[184:185]
	v_add_f64 v[170:171], v[170:171], v[184:185]
	;; [unrolled: 1-line block ×6, first 2 shown]
	v_mul_f64 v[126:127], v[236:237], s[4:5]
	v_accvgpr_read_b32 v0, a114
	v_add_f64 v[126:127], v[128:129], v[126:127]
	v_mul_f64 v[128:129], v[204:205], s[0:1]
	v_accvgpr_read_b32 v1, a115
	v_add_f64 v[116:117], v[118:119], v[116:117]
	v_mul_f64 v[118:119], v[158:159], s[0:1]
	v_add_f64 v[128:129], v[0:1], v[128:129]
	v_accvgpr_read_b32 v0, a86
	v_add_f64 v[118:119], v[118:119], -v[198:199]
	v_mul_f64 v[138:139], v[168:169], s[16:17]
	v_accvgpr_read_b32 v1, a87
	v_add_f64 v[118:119], v[118:119], v[120:121]
	v_mul_f64 v[120:121], v[136:137], s[20:21]
	v_add_f64 v[138:139], v[0:1], v[138:139]
	v_accvgpr_read_b32 v0, a58
	v_add_f64 v[120:121], v[162:163], v[120:121]
	v_mul_f64 v[162:163], v[148:149], s[22:23]
	v_accvgpr_read_b32 v1, a59
	v_add_f64 v[162:163], v[0:1], v[162:163]
	v_accvgpr_read_b32 v0, a30
	v_mul_f64 v[164:165], v[132:133], s[14:15]
	v_accvgpr_read_b32 v1, a31
	v_add_f64 v[164:165], v[0:1], v[164:165]
	v_add_f64 v[164:165], v[30:31], v[164:165]
	;; [unrolled: 1-line block ×5, first 2 shown]
	v_mul_f64 v[138:139], v[234:235], s[4:5]
	v_accvgpr_read_b32 v0, a108
	v_add_f64 v[122:123], v[138:139], -v[122:123]
	v_mul_f64 v[138:139], v[202:203], s[0:1]
	v_accvgpr_read_b32 v1, a109
	v_add_f64 v[126:127], v[126:127], v[128:129]
	v_mul_f64 v[128:129], v[134:135], s[20:21]
	v_add_f64 v[138:139], v[138:139], -v[0:1]
	v_accvgpr_read_b32 v0, a80
	v_add_f64 v[128:129], v[128:129], -v[154:155]
	v_mul_f64 v[154:155], v[166:167], s[16:17]
	v_accvgpr_read_b32 v1, a81
	v_add_f64 v[154:155], v[154:155], -v[0:1]
	v_accvgpr_read_b32 v0, a52
	v_mul_f64 v[162:163], v[146:147], s[22:23]
	v_accvgpr_read_b32 v1, a53
	v_add_f64 v[162:163], v[162:163], -v[0:1]
	v_accvgpr_read_b32 v0, a26
	v_mul_f64 v[164:165], v[130:131], s[14:15]
	v_accvgpr_read_b32 v1, a27
	v_add_f64 v[164:165], v[164:165], -v[0:1]
	v_add_f64 v[164:165], v[28:29], v[164:165]
	v_add_f64 v[162:163], v[162:163], v[164:165]
	;; [unrolled: 1-line block ×5, first 2 shown]
	v_mul_f64 v[126:127], v[158:159], s[18:19]
	v_add_f64 v[122:123], v[122:123], v[138:139]
	v_accvgpr_read_b32 v0, a102
	v_add_f64 v[126:127], v[126:127], -v[192:193]
	v_add_f64 v[122:123], v[128:129], v[122:123]
	v_mul_f64 v[138:139], v[204:205], s[16:17]
	v_accvgpr_read_b32 v1, a103
	v_add_f64 v[122:123], v[126:127], v[122:123]
	v_mul_f64 v[126:127], v[136:137], s[0:1]
	v_add_f64 v[138:139], v[0:1], v[138:139]
	v_accvgpr_read_b32 v0, a74
	v_add_f64 v[126:127], v[150:151], v[126:127]
	v_mul_f64 v[150:151], v[168:169], s[22:23]
	v_accvgpr_read_b32 v1, a75
	v_mul_f64 v[114:115], v[160:161], s[0:1]
	v_add_f64 v[150:151], v[0:1], v[150:151]
	v_accvgpr_read_b32 v0, a44
	v_add_f64 v[114:115], v[206:207], v[114:115]
	v_mul_f64 v[154:155], v[148:149], s[18:19]
	v_accvgpr_read_b32 v1, a45
	v_mul_f64 v[112:113], v[190:191], s[18:19]
	v_add_f64 v[114:115], v[114:115], v[116:117]
	v_mul_f64 v[116:117], v[188:189], s[18:19]
	v_add_f64 v[154:155], v[0:1], v[154:155]
	v_accvgpr_read_b32 v0, a20
	v_add_f64 v[112:113], v[230:231], v[112:113]
	v_add_f64 v[116:117], v[116:117], -v[228:229]
	v_mul_f64 v[162:163], v[132:133], s[4:5]
	v_accvgpr_read_b32 v1, a21
	v_mul_f64 v[170:171], v[158:159], s[14:15]
	v_add_f64 v[114:115], v[112:113], v[114:115]
	v_add_f64 v[112:113], v[116:117], v[118:119]
	v_mul_f64 v[118:119], v[160:161], s[18:19]
	v_add_f64 v[162:163], v[0:1], v[162:163]
	v_add_f64 v[170:171], v[170:171], -v[178:179]
	v_mul_f64 v[178:179], v[134:135], s[0:1]
	v_accvgpr_read_b32 v0, a122
	v_add_f64 v[118:119], v[196:197], v[118:119]
	v_add_f64 v[140:141], v[178:179], -v[140:141]
	v_mul_f64 v[178:179], v[234:235], s[6:7]
	v_accvgpr_read_b32 v1, a123
	v_mul_f64 v[116:117], v[190:191], s[6:7]
	v_add_f64 v[118:119], v[118:119], v[120:121]
	v_mul_f64 v[120:121], v[188:189], s[6:7]
	v_add_f64 v[162:163], v[30:31], v[162:163]
	v_add_f64 v[178:179], v[178:179], -v[0:1]
	v_accvgpr_read_b32 v0, a94
	v_add_f64 v[116:117], v[222:223], v[116:117]
	v_add_f64 v[120:121], v[120:121], -v[220:221]
	v_add_f64 v[154:155], v[154:155], v[162:163]
	v_mul_f64 v[184:185], v[202:203], s[16:17]
	v_accvgpr_read_b32 v1, a95
	v_add_f64 v[118:119], v[116:117], v[118:119]
	v_add_f64 v[116:117], v[120:121], v[122:123]
	v_mul_f64 v[122:123], v[160:161], s[14:15]
	v_mul_f64 v[128:129], v[236:237], s[6:7]
	v_add_f64 v[150:151], v[150:151], v[154:155]
	v_add_f64 v[184:185], v[184:185], -v[0:1]
	v_accvgpr_read_b32 v0, a66
	v_add_f64 v[122:123], v[186:187], v[122:123]
	v_add_f64 v[128:129], v[252:253], v[128:129]
	;; [unrolled: 1-line block ×3, first 2 shown]
	v_mul_f64 v[186:187], v[166:167], s[22:23]
	v_accvgpr_read_b32 v1, a67
	v_add_f64 v[128:129], v[128:129], v[138:139]
	v_add_f64 v[186:187], v[186:187], -v[0:1]
	v_accvgpr_read_b32 v0, a38
	v_mul_f64 v[150:151], v[146:147], s[6:7]
	v_add_f64 v[126:127], v[126:127], v[128:129]
	v_mul_f64 v[128:129], v[146:147], s[14:15]
	v_mul_f64 v[146:147], v[146:147], s[18:19]
	v_accvgpr_read_b32 v1, a39
	v_add_f64 v[146:147], v[146:147], -v[0:1]
	v_accvgpr_read_b32 v0, a18
	v_mul_f64 v[164:165], v[130:131], s[0:1]
	v_mul_f64 v[154:155], v[130:131], s[6:7]
	;; [unrolled: 1-line block ×3, first 2 shown]
	v_accvgpr_read_b32 v1, a19
	v_add_f64 v[130:131], v[130:131], -v[0:1]
	v_add_f64 v[130:131], v[28:29], v[130:131]
	v_add_f64 v[130:131], v[146:147], v[130:131]
	;; [unrolled: 1-line block ×5, first 2 shown]
	v_accvgpr_read_b32 v0, a110
	v_mul_f64 v[120:121], v[190:191], s[20:21]
	v_add_f64 v[122:123], v[122:123], v[126:127]
	v_mul_f64 v[126:127], v[188:189], s[20:21]
	v_mul_f64 v[208:209], v[236:237], s[20:21]
	v_add_f64 v[130:131], v[140:141], v[130:131]
	v_mul_f64 v[140:141], v[136:137], s[18:19]
	v_mul_f64 v[136:137], v[136:137], s[16:17]
	v_accvgpr_read_b32 v1, a111
	v_add_f64 v[120:121], v[218:219], v[120:121]
	v_add_f64 v[126:127], v[126:127], -v[214:215]
	v_add_f64 v[130:131], v[170:171], v[130:131]
	v_add_f64 v[124:125], v[124:125], v[136:137]
	;; [unrolled: 1-line block ×3, first 2 shown]
	v_accvgpr_read_b32 v0, a82
	v_mul_f64 v[146:147], v[204:205], s[14:15]
	v_mul_f64 v[204:205], v[204:205], s[22:23]
	v_add_f64 v[122:123], v[120:121], v[122:123]
	v_add_f64 v[120:121], v[126:127], v[130:131]
	v_mul_f64 v[126:127], v[160:161], s[4:5]
	v_accvgpr_read_b32 v1, a83
	v_add_f64 v[126:127], v[156:157], v[126:127]
	v_add_f64 v[156:157], v[0:1], v[204:205]
	v_accvgpr_read_b32 v0, a54
	v_mul_f64 v[196:197], v[168:169], s[4:5]
	v_mul_f64 v[168:169], v[168:169], s[18:19]
	v_accvgpr_read_b32 v1, a55
	v_add_f64 v[168:169], v[0:1], v[168:169]
	v_accvgpr_read_b32 v0, a32
	v_mul_f64 v[138:139], v[148:149], s[6:7]
	v_mul_f64 v[148:149], v[148:149], s[14:15]
	v_accvgpr_read_b32 v1, a33
	;; [unrolled: 5-line block ×3, first 2 shown]
	v_add_f64 v[132:133], v[0:1], v[132:133]
	v_add_f64 v[132:133], v[30:31], v[132:133]
	;; [unrolled: 1-line block ×4, first 2 shown]
	v_accvgpr_read_b32 v0, a106
	v_mul_f64 v[206:207], v[234:235], s[20:21]
	v_add_f64 v[132:133], v[156:157], v[132:133]
	v_accvgpr_read_b32 v1, a107
	v_add_f64 v[132:133], v[136:137], v[132:133]
	v_add_f64 v[136:137], v[206:207], -v[0:1]
	v_accvgpr_read_b32 v0, a78
	v_mul_f64 v[198:199], v[202:203], s[14:15]
	v_mul_f64 v[202:203], v[202:203], s[22:23]
	v_accvgpr_read_b32 v1, a79
	v_add_f64 v[148:149], v[202:203], -v[0:1]
	v_accvgpr_read_b32 v0, a50
	v_mul_f64 v[192:193], v[166:167], s[4:5]
	v_mul_f64 v[166:167], v[166:167], s[18:19]
	;; [unrolled: 1-line block ×4, first 2 shown]
	v_accvgpr_read_b32 v1, a51
	v_add_f64 v[124:125], v[124:125], v[132:133]
	v_add_f64 v[132:133], v[158:159], -v[152:153]
	v_add_f64 v[152:153], v[166:167], -v[0:1]
	v_accvgpr_read_b32 v0, a28
	v_accvgpr_read_b32 v1, a29
	v_add_f64 v[128:129], v[128:129], -v[0:1]
	v_accvgpr_read_b32 v0, a14
	v_accvgpr_read_b32 v1, a15
	v_add_f64 v[154:155], v[154:155], -v[0:1]
	v_add_f64 v[154:155], v[28:29], v[154:155]
	v_add_f64 v[128:129], v[128:129], v[154:155]
	;; [unrolled: 1-line block ×3, first 2 shown]
	v_mul_f64 v[178:179], v[134:135], s[18:19]
	v_mul_f64 v[134:135], v[134:135], s[16:17]
	v_add_f64 v[128:129], v[148:149], v[128:129]
	v_accvgpr_read_b32 v0, a100
	v_mul_f64 v[184:185], v[236:237], s[16:17]
	v_add_f64 v[134:135], v[134:135], -v[254:255]
	v_add_f64 v[128:129], v[136:137], v[128:129]
	v_accvgpr_read_b32 v1, a101
	v_add_f64 v[128:129], v[134:135], v[128:129]
	v_add_f64 v[134:135], v[0:1], v[184:185]
	v_accvgpr_read_b32 v0, a72
	v_accvgpr_read_b32 v1, a73
	v_add_f64 v[136:137], v[0:1], v[146:147]
	v_accvgpr_read_b32 v0, a46
	v_accvgpr_read_b32 v1, a47
	v_add_f64 v[128:129], v[132:133], v[128:129]
	v_add_f64 v[132:133], v[250:251], v[140:141]
	;; [unrolled: 1-line block ×3, first 2 shown]
	v_accvgpr_read_b32 v0, a24
	v_accvgpr_read_b32 v1, a25
	v_add_f64 v[138:139], v[0:1], v[138:139]
	v_accvgpr_read_b32 v0, a12
	v_mul_f64 v[130:131], v[160:161], s[20:21]
	v_accvgpr_read_b32 v1, a13
	v_add_f64 v[130:131], v[144:145], v[130:131]
	v_add_f64 v[144:145], v[0:1], v[162:163]
	;; [unrolled: 1-line block ×6, first 2 shown]
	v_accvgpr_read_b32 v0, a126
	v_add_f64 v[134:135], v[134:135], v[136:137]
	v_accvgpr_read_b32 v1, a127
	v_add_f64 v[132:133], v[132:133], v[134:135]
	v_add_f64 v[134:135], v[178:179], -v[0:1]
	v_accvgpr_read_b32 v0, a96
	v_mul_f64 v[186:187], v[234:235], s[16:17]
	v_accvgpr_read_b32 v1, a97
	v_add_f64 v[136:137], v[186:187], -v[0:1]
	v_accvgpr_read_b32 v0, a68
	v_accvgpr_read_b32 v1, a69
	v_add_f64 v[138:139], v[198:199], -v[0:1]
	v_accvgpr_read_b32 v0, a42
	;; [unrolled: 3-line block ×3, first 2 shown]
	v_accvgpr_read_b32 v1, a23
	v_add_f64 v[130:131], v[130:131], v[132:133]
	v_add_f64 v[132:133], v[170:171], -v[142:143]
	v_add_f64 v[142:143], v[150:151], -v[0:1]
	v_accvgpr_read_b32 v0, a10
	v_accvgpr_read_b32 v1, a11
	v_add_f64 v[144:145], v[164:165], -v[0:1]
	v_add_f64 v[144:145], v[28:29], v[144:145]
	v_add_f64 v[30:31], v[30:31], v[34:35]
	v_add_f64 v[28:29], v[28:29], v[32:33]
	v_add_f64 v[30:31], v[30:31], v[38:39]
	v_add_f64 v[28:29], v[28:29], v[36:37]
	v_add_f64 v[30:31], v[30:31], v[42:43]
	v_add_f64 v[28:29], v[28:29], v[40:41]
	v_add_f64 v[30:31], v[30:31], v[46:47]
	v_add_f64 v[28:29], v[28:29], v[44:45]
	v_add_f64 v[30:31], v[30:31], v[50:51]
	v_add_f64 v[28:29], v[28:29], v[48:49]
	v_add_f64 v[30:31], v[30:31], v[54:55]
	v_add_f64 v[28:29], v[28:29], v[52:53]
	v_add_f64 v[30:31], v[30:31], v[58:59]
	v_add_f64 v[28:29], v[28:29], v[56:57]
	v_add_f64 v[30:31], v[30:31], v[62:63]
	v_add_f64 v[28:29], v[28:29], v[60:61]
	v_add_f64 v[30:31], v[30:31], v[66:67]
	v_add_f64 v[28:29], v[28:29], v[64:65]
	v_add_f64 v[30:31], v[30:31], v[70:71]
	v_add_f64 v[28:29], v[28:29], v[68:69]
	v_add_f64 v[142:143], v[142:143], v[144:145]
	v_add_f64 v[30:31], v[30:31], v[74:75]
	v_add_f64 v[28:29], v[28:29], v[72:73]
	v_mul_f64 v[160:161], v[190:191], s[0:1]
	v_add_f64 v[140:141], v[140:141], v[142:143]
	v_add_f64 v[30:31], v[30:31], v[78:79]
	;; [unrolled: 1-line block ×4, first 2 shown]
	v_mul_f64 v[200:201], v[188:189], s[22:23]
	v_mul_f64 v[188:189], v[188:189], s[0:1]
	v_add_f64 v[124:125], v[126:127], v[124:125]
	v_add_f64 v[138:139], v[138:139], v[140:141]
	;; [unrolled: 1-line block ×4, first 2 shown]
	v_mul_f64 v[190:191], v[190:191], s[22:23]
	v_add_f64 v[126:127], v[160:161], v[124:125]
	v_add_f64 v[124:125], v[188:189], -v[194:195]
	v_add_f64 v[136:137], v[136:137], v[138:139]
	v_add_f64 v[30:31], v[30:31], v[86:87]
	;; [unrolled: 1-line block ×9, first 2 shown]
	v_add_f64 v[128:129], v[200:201], -v[180:181]
	v_add_f64 v[132:133], v[132:133], v[134:135]
	v_add_f64 v[30:31], v[30:31], v[94:95]
	;; [unrolled: 1-line block ×3, first 2 shown]
	v_add_lshl_u32 v0, v177, v9, 4
	v_add_f64 v[106:107], v[224:225], v[106:107]
	v_add_f64 v[128:129], v[128:129], v[132:133]
	ds_write_b128 v0, v[28:31]
	ds_write_b128 v0, v[128:131] offset:16
	ds_write_b128 v0, v[124:127] offset:32
	;; [unrolled: 1-line block ×16, first 2 shown]
.LBB0_7:
	s_or_b64 exec, exec, s[24:25]
	v_add_lshl_u32 v242, v177, v172, 4
	s_waitcnt lgkmcnt(0)
	s_barrier
	ds_read_b128 v[60:63], v242
	ds_read_b128 v[48:51], v242 offset:544
	ds_read_b128 v[76:79], v242 offset:2448
	;; [unrolled: 1-line block ×7, first 2 shown]
	v_cmp_gt_u16_e64 s[0:1], 17, v172
	s_and_saveexec_b64 s[4:5], s[0:1]
	s_cbranch_execz .LBB0_9
; %bb.8:
	ds_read_b128 v[96:99], v242 offset:2176
	ds_read_b128 v[100:103], v242 offset:4624
.LBB0_9:
	s_or_b64 exec, exec, s[4:5]
	s_movk_i32 s4, 0xffef
	s_mov_b32 s5, -1
	v_lshl_add_u64 v[28:29], v[172:173], 0, s[4:5]
	v_add_u16_e32 v0, 34, v172
	s_movk_i32 s4, 0xf1
	v_mul_lo_u16_sdwa v1, v0, s4 dst_sel:DWORD dst_unused:UNUSED_PAD src0_sel:BYTE_0 src1_sel:DWORD
	v_lshrrev_b16_e32 v1, 12, v1
	v_mul_lo_u16_e32 v2, 17, v1
	v_cndmask_b32_e64 v81, v29, 0, s[0:1]
	v_cndmask_b32_e64 v80, v28, v172, s[0:1]
	v_sub_u16_e32 v0, v0, v2
	v_mov_b32_e32 v2, 4
	v_lshl_add_u64 v[28:29], v[80:81], 4, s[10:11]
	v_lshlrev_b32_sdwa v3, v2, v0 dst_sel:DWORD dst_unused:UNUSED_PAD src0_sel:DWORD src1_sel:BYTE_0
	global_load_dwordx4 v[36:39], v[28:29], off
	global_load_dwordx4 v[164:167], v3, s[10:11]
	v_add_u16_e32 v3, 0x44, v172
	v_add_u16_e32 v6, 0x66, v172
	v_mul_lo_u16_sdwa v4, v3, s4 dst_sel:DWORD dst_unused:UNUSED_PAD src0_sel:BYTE_0 src1_sel:DWORD
	v_mul_lo_u16_sdwa v7, v6, s4 dst_sel:DWORD dst_unused:UNUSED_PAD src0_sel:BYTE_0 src1_sel:DWORD
	v_lshrrev_b16_e32 v4, 12, v4
	v_lshrrev_b16_e32 v7, 12, v7
	v_mul_lo_u16_e32 v5, 17, v4
	v_mul_lo_u16_e32 v8, 17, v7
	v_sub_u16_e32 v3, v3, v5
	v_sub_u16_e32 v6, v6, v8
	v_lshlrev_b32_sdwa v5, v2, v3 dst_sel:DWORD dst_unused:UNUSED_PAD src0_sel:DWORD src1_sel:BYTE_0
	v_lshlrev_b32_sdwa v2, v2, v6 dst_sel:DWORD dst_unused:UNUSED_PAD src0_sel:DWORD src1_sel:BYTE_0
	global_load_dwordx4 v[250:253], v5, s[10:11]
	global_load_dwordx4 v[168:171], v2, s[10:11]
	v_add_u16_e32 v2, 0x88, v172
	v_mul_lo_u16_sdwa v5, v2, s4 dst_sel:DWORD dst_unused:UNUSED_PAD src0_sel:BYTE_0 src1_sel:DWORD
	v_lshrrev_b16_e32 v5, 12, v5
	v_mul_lo_u16_e32 v5, 17, v5
	v_sub_u16_e32 v40, v2, v5
	v_and_b32_e32 v84, 0xff, v40
	v_lshlrev_b32_e32 v2, 4, v84
	global_load_dwordx4 v[42:45], v2, s[10:11]
	s_load_dwordx4 s[4:7], s[2:3], 0x0
	v_cmp_lt_u16_e64 s[2:3], 16, v172
	v_mad_legacy_u16 v0, v1, 34, v0
	v_and_b32_e32 v0, 0xff, v0
	v_cndmask_b32_e64 v2, 0, 34, s[2:3]
	v_add_u32_e32 v2, v80, v2
	v_add_lshl_u32 v46, v177, v0, 4
	v_mul_u32_u24_e32 v0, 34, v4
	v_add_u32_sdwa v0, v0, v3 dst_sel:DWORD dst_unused:UNUSED_PAD src0_sel:DWORD src1_sel:BYTE_0
	v_add_lshl_u32 v41, v177, v2, 4
	v_add_lshl_u32 v47, v177, v0, 4
	v_mul_u32_u24_e32 v0, 34, v7
	s_waitcnt lgkmcnt(0)
	s_barrier
	v_add_u32_sdwa v0, v0, v6 dst_sel:DWORD dst_unused:UNUSED_PAD src0_sel:DWORD src1_sel:BYTE_0
	v_add_lshl_u32 v243, v177, v0, 4
	s_waitcnt vmcnt(4)
	v_mul_f64 v[80:81], v[78:79], v[38:39]
	v_mul_f64 v[82:83], v[76:77], v[38:39]
	v_fma_f64 v[76:77], v[76:77], v[36:37], -v[80:81]
	v_fmac_f64_e32 v[82:83], v[78:79], v[36:37]
	s_waitcnt vmcnt(3)
	v_mul_f64 v[86:87], v[64:65], v[166:167]
	v_mul_f64 v[80:81], v[66:67], v[166:167]
	v_add_f64 v[76:77], v[60:61], -v[76:77]
	v_add_f64 v[78:79], v[62:63], -v[82:83]
	v_fmac_f64_e32 v[86:87], v[66:67], v[164:165]
	v_fma_f64 v[64:65], v[64:65], v[164:165], -v[80:81]
	v_fma_f64 v[60:61], v[60:61], 2.0, -v[76:77]
	ds_write_b128 v41, v[76:79] offset:272
	v_fma_f64 v[62:63], v[62:63], 2.0, -v[78:79]
	v_add_f64 v[64:65], v[48:49], -v[64:65]
	s_waitcnt vmcnt(2)
	v_mul_f64 v[88:89], v[74:75], v[252:253]
	v_mul_f64 v[90:91], v[72:73], v[252:253]
	s_waitcnt vmcnt(1)
	v_mul_f64 v[92:93], v[70:71], v[170:171]
	v_mul_f64 v[94:95], v[68:69], v[170:171]
	v_fma_f64 v[72:73], v[72:73], v[250:251], -v[88:89]
	v_fmac_f64_e32 v[90:91], v[74:75], v[250:251]
	v_fma_f64 v[74:75], v[68:69], v[168:169], -v[92:93]
	v_fmac_f64_e32 v[94:95], v[70:71], v[168:169]
	v_add_f64 v[68:69], v[52:53], -v[72:73]
	s_waitcnt vmcnt(0)
	v_mul_f64 v[66:67], v[102:103], v[44:45]
	v_mul_f64 v[82:83], v[100:101], v[44:45]
	v_fma_f64 v[76:77], v[100:101], v[42:43], -v[66:67]
	v_fmac_f64_e32 v[82:83], v[102:103], v[42:43]
	v_add_f64 v[70:71], v[54:55], -v[90:91]
	v_add_f64 v[72:73], v[56:57], -v[74:75]
	;; [unrolled: 1-line block ×4, first 2 shown]
	v_fma_f64 v[52:53], v[52:53], 2.0, -v[68:69]
	v_fma_f64 v[54:55], v[54:55], 2.0, -v[70:71]
	;; [unrolled: 1-line block ×4, first 2 shown]
	v_add_f64 v[80:81], v[96:97], -v[76:77]
	v_add_f64 v[82:83], v[98:99], -v[82:83]
	ds_write_b128 v41, v[60:63]
	v_fma_f64 v[48:49], v[48:49], 2.0, -v[64:65]
	v_fma_f64 v[50:51], v[50:51], 2.0, -v[66:67]
	ds_write_b128 v46, v[64:67] offset:272
	ds_write_b128 v46, v[48:51]
	ds_write_b128 v47, v[52:55]
	ds_write_b128 v47, v[68:71] offset:272
	ds_write_b128 v243, v[56:59]
	ds_write_b128 v243, v[72:75] offset:272
	s_mov_b64 s[2:3], exec
	v_accvgpr_read_b32 v31, a5
	v_accvgpr_read_b32 v35, a9
	s_and_b64 s[14:15], s[2:3], s[0:1]
	v_accvgpr_read_b32 v30, a4
	v_accvgpr_read_b32 v29, a3
	;; [unrolled: 1-line block ×6, first 2 shown]
	s_mov_b64 exec, s[14:15]
	s_cbranch_execz .LBB0_11
; %bb.10:
	v_fma_f64 v[50:51], v[98:99], 2.0, -v[82:83]
	v_fma_f64 v[48:49], v[96:97], 2.0, -v[80:81]
	v_add_lshl_u32 v0, v177, v84, 4
	ds_write_b128 v0, v[48:51] offset:4352
	ds_write_b128 v0, v[80:83] offset:4624
.LBB0_11:
	s_or_b64 exec, exec, s[2:3]
	v_lshlrev_b32_e32 v0, 7, v172
	s_waitcnt lgkmcnt(0)
	s_barrier
	global_load_dwordx4 v[60:63], v0, s[10:11] offset:272
	global_load_dwordx4 v[56:59], v0, s[10:11] offset:288
	;; [unrolled: 1-line block ×8, first 2 shown]
	ds_read_b128 v[112:115], v242
	ds_read_b128 v[84:87], v242 offset:544
	ds_read_b128 v[88:91], v242 offset:1088
	;; [unrolled: 1-line block ×8, first 2 shown]
	s_mov_b32 s16, 0xa2cf5039
	s_mov_b32 s3, 0x3fe491b7
	s_mov_b32 s2, 0x523c161c
	s_mov_b32 s10, 0x8c811c17
	s_mov_b32 s17, 0x3fe8836f
	s_mov_b32 s20, 0x7e0b738b
	s_mov_b32 s11, 0x3fef838b
	s_mov_b32 s14, 0xe8584cab
	s_mov_b32 s21, 0x3fc63a1a
	s_mov_b32 s15, 0x3febb67a
	s_mov_b32 s18, 0x748a0bf8
	s_mov_b32 s22, 0x42522d1b
	s_mov_b32 s19, 0x3fd5e3a8
	s_mov_b32 s23, 0xbfee11f6
	s_mov_b32 s25, 0xbfebb67a
	s_mov_b32 s24, s14
	v_lshl_add_u32 v173, v172, 4, v176
	s_waitcnt vmcnt(7) lgkmcnt(7)
	v_mul_f64 v[120:121], v[86:87], v[62:63]
	v_mul_f64 v[122:123], v[84:85], v[62:63]
	s_waitcnt vmcnt(5) lgkmcnt(5)
	v_mul_f64 v[130:131], v[92:93], v[54:55]
	v_mul_f64 v[124:125], v[90:91], v[58:59]
	;; [unrolled: 1-line block ×4, first 2 shown]
	s_waitcnt vmcnt(3) lgkmcnt(3)
	v_mul_f64 v[138:139], v[100:101], v[78:79]
	s_waitcnt vmcnt(0) lgkmcnt(0)
	v_mul_f64 v[148:149], v[118:119], v[66:67]
	v_mul_f64 v[150:151], v[116:117], v[66:67]
	;; [unrolled: 1-line block ×5, first 2 shown]
	v_fma_f64 v[84:85], v[84:85], v[60:61], -v[120:121]
	v_fmac_f64_e32 v[122:123], v[86:87], v[60:61]
	v_fmac_f64_e32 v[130:131], v[94:95], v[52:53]
	v_fma_f64 v[94:95], v[116:117], v[64:65], -v[148:149]
	v_fmac_f64_e32 v[150:151], v[118:119], v[64:65]
	v_mul_f64 v[132:133], v[98:99], v[50:51]
	v_mul_f64 v[136:137], v[102:103], v[78:79]
	;; [unrolled: 1-line block ×3, first 2 shown]
	v_fma_f64 v[86:87], v[88:89], v[56:57], -v[124:125]
	v_fmac_f64_e32 v[126:127], v[90:91], v[56:57]
	v_fma_f64 v[88:89], v[92:93], v[52:53], -v[128:129]
	v_fmac_f64_e32 v[138:139], v[102:103], v[76:77]
	v_fma_f64 v[90:91], v[104:105], v[72:73], -v[140:141]
	v_fma_f64 v[92:93], v[108:109], v[68:69], -v[144:145]
	v_fmac_f64_e32 v[146:147], v[110:111], v[68:69]
	v_add_f64 v[116:117], v[84:85], v[94:95]
	v_add_f64 v[118:119], v[122:123], v[150:151]
	v_add_f64 v[102:103], v[84:85], -v[94:95]
	v_add_f64 v[122:123], v[122:123], -v[150:151]
	v_mul_f64 v[134:135], v[96:97], v[50:51]
	v_fma_f64 v[120:121], v[96:97], v[48:49], -v[132:133]
	v_fmac_f64_e32 v[142:143], v[106:107], v[72:73]
	v_add_f64 v[124:125], v[86:87], v[92:93]
	v_add_f64 v[128:129], v[126:127], v[146:147]
	v_add_f64 v[132:133], v[88:89], v[90:91]
	v_add_f64 v[140:141], v[86:87], -v[92:93]
	v_add_f64 v[126:127], v[126:127], -v[146:147]
	;; [unrolled: 1-line block ×3, first 2 shown]
	v_mul_f64 v[88:89], v[102:103], s[2:3]
	v_mul_f64 v[90:91], v[122:123], s[2:3]
	v_fma_f64 v[84:85], s[16:17], v[116:117], v[112:113]
	v_fma_f64 v[86:87], s[16:17], v[118:119], v[114:115]
	v_fmac_f64_e32 v[134:135], v[98:99], v[48:49]
	v_fma_f64 v[100:101], v[100:101], v[76:77], -v[136:137]
	v_add_f64 v[136:137], v[130:131], v[142:143]
	v_add_f64 v[130:131], v[130:131], -v[142:143]
	v_fmac_f64_e32 v[88:89], s[10:11], v[140:141]
	v_fmac_f64_e32 v[90:91], s[10:11], v[126:127]
	;; [unrolled: 1-line block ×4, first 2 shown]
	v_add_f64 v[142:143], v[120:121], -v[100:101]
	v_add_f64 v[146:147], v[134:135], -v[138:139]
	v_fmac_f64_e32 v[88:89], s[14:15], v[144:145]
	v_fmac_f64_e32 v[90:91], s[14:15], v[130:131]
	v_fmac_f64_e32 v[84:85], -0.5, v[132:133]
	v_fmac_f64_e32 v[86:87], -0.5, v[136:137]
	v_add_f64 v[148:149], v[120:121], v[100:101]
	v_add_f64 v[150:151], v[134:135], v[138:139]
	v_fmac_f64_e32 v[88:89], s[18:19], v[142:143]
	v_fmac_f64_e32 v[90:91], s[18:19], v[146:147]
	;; [unrolled: 1-line block ×4, first 2 shown]
	v_add_f64 v[84:85], v[90:91], v[84:85]
	v_add_f64 v[86:87], v[86:87], -v[88:89]
	s_mov_b32 s3, 0xbfe491b7
	v_fma_f64 v[92:93], -2.0, v[90:91], v[84:85]
	v_fma_f64 v[94:95], 2.0, v[88:89], v[86:87]
	v_mul_f64 v[96:97], v[142:143], s[2:3]
	v_mul_f64 v[98:99], v[146:147], s[2:3]
	v_fma_f64 v[88:89], s[16:17], v[148:149], v[112:113]
	v_fma_f64 v[90:91], s[16:17], v[150:151], v[114:115]
	v_fmac_f64_e32 v[96:97], s[10:11], v[102:103]
	v_fmac_f64_e32 v[98:99], s[10:11], v[122:123]
	;; [unrolled: 1-line block ×6, first 2 shown]
	v_fmac_f64_e32 v[88:89], -0.5, v[132:133]
	v_fmac_f64_e32 v[90:91], -0.5, v[136:137]
	v_fmac_f64_e32 v[96:97], s[18:19], v[140:141]
	v_fmac_f64_e32 v[98:99], s[18:19], v[126:127]
	;; [unrolled: 1-line block ×4, first 2 shown]
	v_add_f64 v[88:89], v[98:99], v[88:89]
	v_add_f64 v[90:91], v[90:91], -v[96:97]
	v_fma_f64 v[104:105], -2.0, v[98:99], v[88:89]
	v_fma_f64 v[106:107], 2.0, v[96:97], v[90:91]
	v_add_f64 v[96:97], v[142:143], v[102:103]
	v_add_f64 v[98:99], v[146:147], v[122:123]
	v_mul_f64 v[142:143], v[142:143], s[10:11]
	v_mul_f64 v[146:147], v[146:147], s[10:11]
	v_add_f64 v[108:109], v[96:97], -v[140:141]
	v_add_f64 v[110:111], v[98:99], -v[126:127]
	v_fma_f64 v[140:141], v[140:141], s[2:3], -v[142:143]
	v_fma_f64 v[126:127], v[126:127], s[2:3], -v[146:147]
	v_add_f64 v[156:157], v[124:125], v[116:117]
	v_add_f64 v[158:159], v[128:129], v[118:119]
	v_fmac_f64_e32 v[140:141], s[14:15], v[144:145]
	v_fmac_f64_e32 v[126:127], s[14:15], v[130:131]
	v_fmac_f64_e32 v[140:141], s[18:19], v[102:103]
	v_fmac_f64_e32 v[126:127], s[18:19], v[122:123]
	v_add_f64 v[102:103], v[132:133], v[156:157]
	v_add_f64 v[122:123], v[136:137], v[158:159]
	;; [unrolled: 1-line block ×10, first 2 shown]
	v_fmac_f64_e32 v[112:113], s[16:17], v[124:125]
	v_fmac_f64_e32 v[114:115], s[16:17], v[128:129]
	;; [unrolled: 1-line block ×4, first 2 shown]
	v_add_f64 v[160:161], v[148:149], v[156:157]
	v_add_f64 v[162:163], v[150:151], v[158:159]
	v_fmac_f64_e32 v[112:113], -0.5, v[132:133]
	v_fmac_f64_e32 v[114:115], -0.5, v[136:137]
	;; [unrolled: 1-line block ×4, first 2 shown]
	v_fmac_f64_e32 v[112:113], s[22:23], v[116:117]
	v_fmac_f64_e32 v[114:115], s[22:23], v[118:119]
	v_mul_f64 v[152:153], v[108:109], s[14:15]
	v_mul_f64 v[154:155], v[110:111], s[14:15]
	v_fmac_f64_e32 v[96:97], s[14:15], v[110:111]
	v_fmac_f64_e32 v[98:99], s[24:25], v[108:109]
	v_add_f64 v[112:113], v[126:127], v[112:113]
	v_add_f64 v[114:115], v[114:115], -v[140:141]
	v_fma_f64 v[108:109], -2.0, v[154:155], v[96:97]
	v_fma_f64 v[110:111], 2.0, v[152:153], v[98:99]
	v_fma_f64 v[116:117], -2.0, v[126:127], v[112:113]
	v_fma_f64 v[118:119], 2.0, v[140:141], v[114:115]
	ds_write_b128 v173, v[100:103]
	ds_write_b128 v173, v[84:87] offset:544
	ds_write_b128 v173, v[88:91] offset:1088
	;; [unrolled: 1-line block ×8, first 2 shown]
	s_waitcnt lgkmcnt(0)
	s_barrier
	s_and_saveexec_b64 s[10:11], vcc
	s_cbranch_execz .LBB0_13
; %bb.12:
	s_add_u32 s14, s8, 0x1320
	s_addc_u32 s15, s9, 0
	global_load_dwordx4 v[126:129], v174, s[14:15]
	ds_read_b128 v[122:125], v173
	v_mov_b32_e32 v175, 0
	v_lshl_add_u64 v[120:121], s[14:15], 0, v[174:175]
	s_movk_i32 s2, 0x1000
	v_add_co_u32_e64 v120, s[2:3], s2, v120
	v_or_b32_e32 v0, 0x1200, v174
	s_nop 0
	v_addc_co_u32_e64 v121, s[2:3], 0, v121, s[2:3]
	s_waitcnt vmcnt(0) lgkmcnt(0)
	v_mul_f64 v[130:131], v[124:125], v[128:129]
	v_mul_f64 v[132:133], v[122:123], v[128:129]
	v_fma_f64 v[130:131], v[122:123], v[126:127], -v[130:131]
	v_fmac_f64_e32 v[132:133], v[124:125], v[126:127]
	global_load_dwordx4 v[126:129], v174, s[14:15] offset:288
	ds_read_b128 v[122:125], v173 offset:288
	ds_write_b128 v173, v[130:133]
	s_waitcnt vmcnt(0) lgkmcnt(1)
	v_mul_f64 v[130:131], v[124:125], v[128:129]
	v_mul_f64 v[132:133], v[122:123], v[128:129]
	v_fma_f64 v[130:131], v[122:123], v[126:127], -v[130:131]
	v_fmac_f64_e32 v[132:133], v[124:125], v[126:127]
	global_load_dwordx4 v[126:129], v174, s[14:15] offset:576
	ds_read_b128 v[122:125], v173 offset:576
	ds_write_b128 v173, v[130:133] offset:288
	s_waitcnt vmcnt(0) lgkmcnt(1)
	v_mul_f64 v[130:131], v[124:125], v[128:129]
	v_mul_f64 v[132:133], v[122:123], v[128:129]
	v_fma_f64 v[130:131], v[122:123], v[126:127], -v[130:131]
	v_fmac_f64_e32 v[132:133], v[124:125], v[126:127]
	global_load_dwordx4 v[126:129], v174, s[14:15] offset:864
	ds_read_b128 v[122:125], v173 offset:864
	ds_write_b128 v173, v[130:133] offset:576
	;; [unrolled: 8-line block ×13, first 2 shown]
	s_waitcnt vmcnt(0) lgkmcnt(1)
	v_mul_f64 v[130:131], v[124:125], v[128:129]
	v_mul_f64 v[132:133], v[122:123], v[128:129]
	v_fma_f64 v[130:131], v[122:123], v[126:127], -v[130:131]
	v_fmac_f64_e32 v[132:133], v[124:125], v[126:127]
	global_load_dwordx4 v[126:129], v[120:121], off offset:224
	ds_read_b128 v[122:125], v173 offset:4320
	ds_write_b128 v173, v[130:133] offset:4032
	s_waitcnt vmcnt(0) lgkmcnt(1)
	v_mul_f64 v[120:121], v[124:125], v[128:129]
	v_fma_f64 v[120:121], v[122:123], v[126:127], -v[120:121]
	v_mul_f64 v[122:123], v[122:123], v[128:129]
	v_fmac_f64_e32 v[122:123], v[124:125], v[126:127]
	global_load_dwordx4 v[124:127], v0, s[14:15]
	ds_write_b128 v173, v[120:123] offset:4320
	ds_read_b128 v[120:123], v173 offset:4608
	s_waitcnt vmcnt(0) lgkmcnt(0)
	v_mul_f64 v[128:129], v[122:123], v[126:127]
	v_mul_f64 v[130:131], v[120:121], v[126:127]
	v_fma_f64 v[128:129], v[120:121], v[124:125], -v[128:129]
	v_fmac_f64_e32 v[130:131], v[122:123], v[124:125]
	ds_write_b128 v173, v[128:131] offset:4608
.LBB0_13:
	s_or_b64 exec, exec, s[10:11]
	s_waitcnt lgkmcnt(0)
	s_barrier
	s_and_saveexec_b64 s[2:3], vcc
	s_cbranch_execz .LBB0_15
; %bb.14:
	ds_read_b128 v[100:103], v173
	ds_read_b128 v[84:87], v173 offset:288
	ds_read_b128 v[88:91], v173 offset:576
	;; [unrolled: 1-line block ×16, first 2 shown]
.LBB0_15:
	s_or_b64 exec, exec, s[2:3]
	s_mov_b32 s14, 0xacd6c6b4
	s_waitcnt lgkmcnt(0)
	v_add_f64 v[184:185], v[86:87], -v[12:13]
	s_mov_b32 s15, 0xbfc7851a
	s_mov_b32 s2, 0x7faef3
	;; [unrolled: 1-line block ×3, first 2 shown]
	v_add_f64 v[178:179], v[84:85], v[10:11]
	v_mul_f64 v[120:121], v[184:185], s[14:15]
	s_mov_b32 s3, 0xbfef7484
	v_add_f64 v[192:193], v[90:91], -v[16:17]
	s_mov_b32 s39, 0x3fd71e95
	s_mov_b32 s10, 0x370991
	v_add_f64 v[180:181], v[86:87], v[12:13]
	v_fma_f64 v[122:123], s[2:3], v[178:179], v[120:121]
	v_add_f64 v[182:183], v[88:89], v[14:15]
	v_mul_f64 v[128:129], v[192:193], s[38:39]
	s_mov_b32 s11, 0x3fedd6d0
	v_add_f64 v[190:191], v[84:85], -v[10:11]
	v_add_f64 v[122:123], v[100:101], v[122:123]
	v_mul_f64 v[124:125], v[180:181], s[2:3]
	s_mov_b32 s49, 0x3fc7851a
	s_mov_b32 s48, s14
	v_fma_f64 v[120:121], v[178:179], s[2:3], -v[120:121]
	v_add_f64 v[186:187], v[90:91], v[16:17]
	v_fma_f64 v[130:131], s[10:11], v[182:183], v[128:129]
	s_mov_b32 s24, 0x4363dd80
	v_fma_f64 v[126:127], s[48:49], v[190:191], v[124:125]
	v_add_f64 v[120:121], v[100:101], v[120:121]
	v_fmac_f64_e32 v[124:125], s[14:15], v[190:191]
	v_add_f64 v[198:199], v[88:89], -v[14:15]
	v_add_f64 v[122:123], v[130:131], v[122:123]
	v_mul_f64 v[130:131], v[186:187], s[10:11]
	s_mov_b32 s21, 0xbfd71e95
	s_mov_b32 s20, s38
	v_fma_f64 v[128:129], v[182:183], s[10:11], -v[128:129]
	v_add_f64 v[200:201], v[98:99], -v[20:21]
	s_mov_b32 s25, 0xbfe0d888
	s_mov_b32 s16, 0x910ea3b9
	v_add_f64 v[124:125], v[102:103], v[124:125]
	v_fma_f64 v[132:133], s[20:21], v[198:199], v[130:131]
	v_add_f64 v[120:121], v[128:129], v[120:121]
	v_fmac_f64_e32 v[130:131], s[38:39], v[198:199]
	v_add_f64 v[188:189], v[96:97], v[18:19]
	v_mul_f64 v[128:129], v[200:201], s[24:25]
	s_mov_b32 s17, 0xbfeb34fa
	v_add_f64 v[124:125], v[130:131], v[124:125]
	v_add_f64 v[194:195], v[98:99], v[20:21]
	v_fma_f64 v[130:131], s[16:17], v[188:189], v[128:129]
	s_mov_b32 s54, 0x2a9d6da3
	v_add_f64 v[126:127], v[102:103], v[126:127]
	v_add_f64 v[206:207], v[96:97], -v[18:19]
	v_add_f64 v[122:123], v[130:131], v[122:123]
	v_mul_f64 v[130:131], v[194:195], s[16:17]
	s_mov_b32 s45, 0x3fe0d888
	s_mov_b32 s44, s24
	v_fma_f64 v[128:129], v[188:189], s[16:17], -v[128:129]
	v_add_f64 v[208:209], v[114:115], -v[24:25]
	s_mov_b32 s55, 0x3fe58eea
	s_mov_b32 s22, 0x75d4884
	v_add_f64 v[126:127], v[132:133], v[126:127]
	v_fma_f64 v[132:133], s[44:45], v[206:207], v[130:131]
	v_add_f64 v[120:121], v[128:129], v[120:121]
	v_fmac_f64_e32 v[130:131], s[24:25], v[206:207]
	v_add_f64 v[196:197], v[112:113], v[22:23]
	v_mul_f64 v[128:129], v[208:209], s[54:55]
	s_mov_b32 s23, 0x3fe7a5f6
	v_add_f64 v[124:125], v[130:131], v[124:125]
	v_add_f64 v[202:203], v[114:115], v[24:25]
	v_fma_f64 v[130:131], s[22:23], v[196:197], v[128:129]
	s_mov_b32 s34, 0x6c9a05f6
	v_add_f64 v[214:215], v[112:113], -v[22:23]
	v_add_f64 v[122:123], v[130:131], v[122:123]
	v_mul_f64 v[130:131], v[202:203], s[22:23]
	s_mov_b32 s29, 0xbfe58eea
	s_mov_b32 s28, s54
	v_fma_f64 v[128:129], v[196:197], s[22:23], -v[128:129]
	v_add_f64 v[216:217], v[118:119], -v[248:249]
	s_mov_b32 s35, 0xbfe9895b
	s_mov_b32 s26, 0x6ed5f1bb
	v_add_f64 v[126:127], v[132:133], v[126:127]
	v_fma_f64 v[132:133], s[28:29], v[214:215], v[130:131]
	v_add_f64 v[120:121], v[128:129], v[120:121]
	v_fmac_f64_e32 v[130:131], s[54:55], v[214:215]
	v_add_f64 v[204:205], v[116:117], v[246:247]
	v_mul_f64 v[128:129], v[216:217], s[34:35]
	s_mov_b32 s27, 0xbfe348c8
	v_add_f64 v[124:125], v[130:131], v[124:125]
	v_add_f64 v[210:211], v[118:119], v[248:249]
	v_fma_f64 v[130:131], s[26:27], v[204:205], v[128:129]
	s_mov_b32 s52, 0x7c9e640b
	;; [unrolled: 20-line block ×3, first 2 shown]
	v_add_f64 v[230:231], v[108:109], -v[28:29]
	v_add_f64 v[122:123], v[130:131], v[122:123]
	v_mul_f64 v[130:131], v[218:219], s[30:31]
	s_mov_b32 s41, 0xbfeca52d
	s_mov_b32 s40, s52
	v_fma_f64 v[128:129], v[212:213], s[30:31], -v[128:129]
	v_add_f64 v[232:233], v[106:107], -v[34:35]
	s_mov_b32 s47, 0xbfeec746
	s_mov_b32 s36, 0xc61f0d01
	v_add_f64 v[126:127], v[132:133], v[126:127]
	v_fma_f64 v[132:133], s[40:41], v[230:231], v[130:131]
	v_add_f64 v[120:121], v[128:129], v[120:121]
	v_fmac_f64_e32 v[130:131], s[52:53], v[230:231]
	v_add_f64 v[220:221], v[104:105], v[32:33]
	v_mul_f64 v[128:129], v[232:233], s[46:47]
	s_mov_b32 s37, 0xbfd183b1
	v_add_f64 v[124:125], v[130:131], v[124:125]
	v_add_f64 v[226:227], v[106:107], v[34:35]
	v_fma_f64 v[130:131], s[36:37], v[220:221], v[128:129]
	v_add_f64 v[236:237], v[104:105], -v[32:33]
	v_add_f64 v[122:123], v[130:131], v[122:123]
	v_mul_f64 v[130:131], v[226:227], s[36:37]
	s_mov_b32 s57, 0x3feec746
	s_mov_b32 s56, s46
	;; [unrolled: 1-line block ×3, first 2 shown]
	v_add_f64 v[126:127], v[132:133], v[126:127]
	v_fma_f64 v[132:133], s[56:57], v[236:237], v[130:131]
	v_fmac_f64_e32 v[130:131], s[46:47], v[236:237]
	v_add_f64 v[238:239], v[94:95], -v[82:83]
	s_mov_b32 s61, 0x3fefdd0d
	s_mov_b32 s42, 0x3259b75e
	v_fma_f64 v[128:129], v[220:221], s[36:37], -v[128:129]
	v_add_f64 v[130:131], v[130:131], v[124:125]
	v_add_f64 v[228:229], v[92:93], v[80:81]
	v_add_f64 v[234:235], v[94:95], v[82:83]
	v_mul_f64 v[124:125], v[238:239], s[60:61]
	s_mov_b32 s43, 0x3fb79ee6
	v_add_f64 v[126:127], v[132:133], v[126:127]
	v_add_f64 v[128:129], v[128:129], v[120:121]
	v_add_f64 v[240:241], v[92:93], -v[80:81]
	v_fma_f64 v[120:121], s[42:43], v[228:229], v[124:125]
	v_mul_f64 v[132:133], v[234:235], s[42:43]
	s_mov_b32 s51, 0xbfefdd0d
	s_mov_b32 s50, s60
	v_add_f64 v[120:121], v[120:121], v[122:123]
	v_fma_f64 v[122:123], s[50:51], v[240:241], v[132:133]
	v_fma_f64 v[124:125], v[228:229], s[42:43], -v[124:125]
	v_fmac_f64_e32 v[132:133], s[60:61], v[240:241]
	v_add_f64 v[122:123], v[122:123], v[126:127]
	v_add_f64 v[124:125], v[124:125], v[128:129]
	v_add_f64 v[126:127], v[132:133], v[130:131]
	s_barrier
	s_and_saveexec_b64 s[18:19], vcc
	s_cbranch_execz .LBB0_17
; %bb.16:
	v_mul_f64 v[156:157], v[190:191], s[24:25]
	v_accvgpr_write_b32 a18, v250
	v_mul_f64 v[152:153], v[198:199], s[52:53]
	v_fma_f64 v[158:159], s[16:17], v[180:181], v[156:157]
	v_accvgpr_write_b32 a14, v168
	v_accvgpr_write_b32 a19, v251
	;; [unrolled: 1-line block ×4, first 2 shown]
	v_mul_f64 v[250:251], v[184:185], s[24:25]
	v_mul_f64 v[148:149], v[206:207], s[50:51]
	v_fma_f64 v[154:155], s[30:31], v[186:187], v[152:153]
	v_add_f64 v[158:159], v[102:103], v[158:159]
	v_accvgpr_write_b32 a6, v164
	v_accvgpr_write_b32 a15, v169
	;; [unrolled: 1-line block ×4, first 2 shown]
	v_mul_f64 v[170:171], v[192:193], s[52:53]
	v_accvgpr_write_b32 a34, v246
	v_fma_f64 v[252:253], v[178:179], s[16:17], -v[250:251]
	v_mul_f64 v[144:145], v[214:215], s[58:59]
	v_fma_f64 v[150:151], s[42:43], v[194:195], v[148:149]
	v_add_f64 v[154:155], v[154:155], v[158:159]
	v_accvgpr_write_b32 a7, v165
	v_accvgpr_write_b32 a8, v166
	;; [unrolled: 1-line block ×3, first 2 shown]
	v_mul_f64 v[166:167], v[200:201], s[50:51]
	v_accvgpr_write_b32 a35, v247
	v_accvgpr_write_b32 a36, v248
	;; [unrolled: 1-line block ×3, first 2 shown]
	v_fma_f64 v[248:249], v[182:183], s[30:31], -v[170:171]
	v_add_f64 v[252:253], v[100:101], v[252:253]
	v_mul_f64 v[140:141], v[222:223], s[20:21]
	v_fma_f64 v[146:147], s[26:27], v[202:203], v[144:145]
	v_add_f64 v[150:151], v[150:151], v[154:155]
	v_mul_f64 v[162:163], v[208:209], s[58:59]
	v_fma_f64 v[168:169], v[188:189], s[42:43], -v[166:167]
	v_add_f64 v[248:249], v[248:249], v[252:253]
	v_mul_f64 v[136:137], v[230:231], s[14:15]
	v_fma_f64 v[142:143], s[10:11], v[210:211], v[140:141]
	v_add_f64 v[146:147], v[146:147], v[150:151]
	v_mul_f64 v[158:159], v[216:217], s[20:21]
	;; [unrolled: 6-line block ×4, first 2 shown]
	v_fma_f64 v[154:155], v[212:213], s[2:3], -v[150:151]
	v_add_f64 v[160:161], v[160:161], v[164:165]
	v_fma_f64 v[128:129], s[36:37], v[234:235], v[132:133]
	v_add_f64 v[130:131], v[130:131], v[138:139]
	v_mul_f64 v[138:139], v[238:239], s[46:47]
	v_fma_f64 v[146:147], v[220:221], s[22:23], -v[142:143]
	v_add_f64 v[154:155], v[154:155], v[160:161]
	v_add_f64 v[2:3], v[128:129], v[130:131]
	v_fma_f64 v[128:129], v[228:229], s[36:37], -v[138:139]
	v_add_f64 v[146:147], v[146:147], v[154:155]
	v_add_f64 v[0:1], v[128:129], v[146:147]
	v_fma_f64 v[146:147], v[194:195], s[42:43], -v[148:149]
	v_fma_f64 v[148:149], v[186:187], s[30:31], -v[152:153]
	;; [unrolled: 1-line block ×3, first 2 shown]
	v_add_f64 v[152:153], v[102:103], v[152:153]
	v_add_f64 v[148:149], v[148:149], v[152:153]
	v_fma_f64 v[144:145], v[202:203], s[26:27], -v[144:145]
	v_add_f64 v[146:147], v[146:147], v[148:149]
	v_fma_f64 v[140:141], v[210:211], s[10:11], -v[140:141]
	;; [unrolled: 2-line block ×5, first 2 shown]
	v_add_f64 v[134:135], v[134:135], v[136:137]
	v_fmac_f64_e32 v[250:251], s[16:17], v[178:179]
	v_add_f64 v[134:135], v[132:133], v[134:135]
	v_fmac_f64_e32 v[170:171], s[30:31], v[182:183]
	;; [unrolled: 2-line block ×3, first 2 shown]
	v_add_f64 v[132:133], v[170:171], v[132:133]
	v_mul_f64 v[164:165], v[190:191], s[34:35]
	v_fmac_f64_e32 v[162:163], s[26:27], v[196:197]
	v_add_f64 v[132:133], v[166:167], v[132:133]
	v_mul_f64 v[160:161], v[198:199], s[56:57]
	v_fma_f64 v[166:167], s[26:27], v[180:181], v[164:165]
	v_mul_f64 v[246:247], v[184:185], s[34:35]
	v_fmac_f64_e32 v[158:159], s[10:11], v[204:205]
	v_add_f64 v[132:133], v[162:163], v[132:133]
	v_mul_f64 v[156:157], v[206:207], s[20:21]
	v_fma_f64 v[162:163], s[36:37], v[186:187], v[160:161]
	v_add_f64 v[166:167], v[102:103], v[166:167]
	v_mul_f64 v[254:255], v[192:193], s[56:57]
	v_fma_f64 v[128:129], v[178:179], s[26:27], -v[246:247]
	v_add_f64 v[132:133], v[158:159], v[132:133]
	v_mul_f64 v[152:153], v[214:215], s[24:25]
	v_fma_f64 v[158:159], s[10:11], v[194:195], v[156:157]
	v_add_f64 v[162:163], v[162:163], v[166:167]
	v_mul_f64 v[250:251], v[200:201], s[20:21]
	v_fma_f64 v[244:245], v[182:183], s[36:37], -v[254:255]
	v_add_f64 v[128:129], v[100:101], v[128:129]
	v_fmac_f64_e32 v[150:151], s[2:3], v[212:213]
	v_mul_f64 v[148:149], v[222:223], s[60:61]
	v_fma_f64 v[154:155], s[16:17], v[202:203], v[152:153]
	v_add_f64 v[158:159], v[158:159], v[162:163]
	v_mul_f64 v[170:171], v[208:209], s[24:25]
	v_fma_f64 v[252:253], v[188:189], s[10:11], -v[250:251]
	v_add_f64 v[128:129], v[244:245], v[128:129]
	v_fmac_f64_e32 v[142:143], s[22:23], v[220:221]
	v_add_f64 v[132:133], v[150:151], v[132:133]
	v_mul_f64 v[144:145], v[230:231], s[28:29]
	v_fma_f64 v[150:151], s[42:43], v[210:211], v[148:149]
	v_add_f64 v[154:155], v[154:155], v[158:159]
	v_mul_f64 v[166:167], v[216:217], s[60:61]
	v_fma_f64 v[248:249], v[196:197], s[16:17], -v[170:171]
	v_add_f64 v[128:129], v[252:253], v[128:129]
	v_fmac_f64_e32 v[138:139], s[36:37], v[228:229]
	v_add_f64 v[132:133], v[142:143], v[132:133]
	v_mul_f64 v[142:143], v[236:237], s[14:15]
	v_fma_f64 v[146:147], s[22:23], v[218:219], v[144:145]
	v_add_f64 v[150:151], v[150:151], v[154:155]
	v_mul_f64 v[158:159], v[224:225], s[28:29]
	v_fma_f64 v[168:169], v[204:205], s[42:43], -v[166:167]
	v_add_f64 v[128:129], v[248:249], v[128:129]
	v_add_f64 v[132:133], v[138:139], v[132:133]
	v_mul_f64 v[140:141], v[240:241], s[52:53]
	v_fma_f64 v[138:139], s[2:3], v[226:227], v[142:143]
	v_add_f64 v[146:147], v[146:147], v[150:151]
	v_mul_f64 v[150:151], v[232:233], s[14:15]
	v_fma_f64 v[162:163], v[212:213], s[22:23], -v[158:159]
	v_add_f64 v[128:129], v[168:169], v[128:129]
	v_fma_f64 v[136:137], s[30:31], v[234:235], v[140:141]
	v_add_f64 v[138:139], v[138:139], v[146:147]
	v_mul_f64 v[146:147], v[238:239], s[52:53]
	v_fma_f64 v[154:155], v[220:221], s[2:3], -v[150:151]
	v_add_f64 v[128:129], v[162:163], v[128:129]
	v_add_f64 v[138:139], v[136:137], v[138:139]
	v_fma_f64 v[136:137], v[228:229], s[30:31], -v[146:147]
	v_add_f64 v[128:129], v[154:155], v[128:129]
	v_fma_f64 v[154:155], v[180:181], s[26:27], -v[164:165]
	;; [unrolled: 2-line block ×3, first 2 shown]
	v_fma_f64 v[140:141], v[218:219], s[22:23], -v[144:145]
	v_fma_f64 v[144:145], v[202:203], s[16:17], -v[152:153]
	;; [unrolled: 1-line block ×3, first 2 shown]
	v_add_f64 v[154:155], v[102:103], v[154:155]
	v_fma_f64 v[130:131], v[226:227], s[2:3], -v[142:143]
	v_fma_f64 v[142:143], v[210:211], s[42:43], -v[148:149]
	;; [unrolled: 1-line block ×3, first 2 shown]
	v_add_f64 v[152:153], v[152:153], v[154:155]
	v_add_f64 v[148:149], v[148:149], v[152:153]
	;; [unrolled: 1-line block ×6, first 2 shown]
	v_fmac_f64_e32 v[246:247], s[26:27], v[178:179]
	v_add_f64 v[142:143], v[128:129], v[130:131]
	v_fmac_f64_e32 v[254:255], s[36:37], v[182:183]
	v_add_f64 v[128:129], v[100:101], v[246:247]
	;; [unrolled: 2-line block ×4, first 2 shown]
	v_mul_f64 v[168:169], v[190:191], s[46:47]
	v_accvgpr_write_b32 a33, v3
	v_fmac_f64_e32 v[166:167], s[42:43], v[204:205]
	v_add_f64 v[128:129], v[170:171], v[128:129]
	v_mul_f64 v[164:165], v[198:199], s[44:45]
	v_fma_f64 v[170:171], s[36:37], v[180:181], v[168:169]
	v_accvgpr_write_b32 a32, v2
	v_accvgpr_write_b32 a31, v1
	;; [unrolled: 1-line block ×3, first 2 shown]
	v_add_f64 v[128:129], v[166:167], v[128:129]
	v_mul_f64 v[160:161], v[206:207], s[54:55]
	v_fma_f64 v[166:167], s[16:17], v[186:187], v[164:165]
	v_add_f64 v[170:171], v[102:103], v[170:171]
	v_mul_f64 v[0:1], v[184:185], s[46:47]
	v_fmac_f64_e32 v[158:159], s[22:23], v[212:213]
	v_mul_f64 v[156:157], v[214:215], s[40:41]
	v_fma_f64 v[162:163], s[22:23], v[194:195], v[160:161]
	v_add_f64 v[166:167], v[166:167], v[170:171]
	v_mul_f64 v[254:255], v[192:193], s[44:45]
	v_fma_f64 v[2:3], v[178:179], s[36:37], -v[0:1]
	v_fmac_f64_e32 v[150:151], s[2:3], v[220:221]
	v_add_f64 v[128:129], v[158:159], v[128:129]
	v_mul_f64 v[152:153], v[222:223], s[14:15]
	v_fma_f64 v[158:159], s[30:31], v[202:203], v[156:157]
	v_add_f64 v[162:163], v[162:163], v[166:167]
	v_mul_f64 v[250:251], v[200:201], s[54:55]
	v_mov_b32_e32 v175, v176
	v_fma_f64 v[176:177], v[182:183], s[16:17], -v[254:255]
	v_add_f64 v[2:3], v[100:101], v[2:3]
	v_fmac_f64_e32 v[146:147], s[30:31], v[228:229]
	v_add_f64 v[128:129], v[150:151], v[128:129]
	v_mul_f64 v[150:151], v[230:231], s[60:61]
	v_fma_f64 v[154:155], s[2:3], v[210:211], v[152:153]
	v_add_f64 v[158:159], v[158:159], v[162:163]
	v_mul_f64 v[246:247], v[208:209], s[40:41]
	v_fma_f64 v[252:253], v[188:189], s[22:23], -v[250:251]
	v_add_f64 v[2:3], v[176:177], v[2:3]
	v_add_f64 v[140:141], v[146:147], v[128:129]
	v_mul_f64 v[148:149], v[236:237], s[20:21]
	v_fma_f64 v[146:147], s[42:43], v[218:219], v[150:151]
	v_add_f64 v[154:155], v[154:155], v[158:159]
	v_mul_f64 v[170:171], v[216:217], s[14:15]
	v_fma_f64 v[248:249], v[196:197], s[30:31], -v[246:247]
	v_add_f64 v[2:3], v[252:253], v[2:3]
	v_mul_f64 v[128:129], v[240:241], s[34:35]
	v_fma_f64 v[144:145], s[10:11], v[226:227], v[148:149]
	v_add_f64 v[146:147], v[146:147], v[154:155]
	v_mul_f64 v[162:163], v[224:225], s[60:61]
	v_fma_f64 v[244:245], v[204:205], s[2:3], -v[170:171]
	v_add_f64 v[2:3], v[248:249], v[2:3]
	v_fma_f64 v[130:131], s[26:27], v[234:235], v[128:129]
	v_add_f64 v[144:145], v[144:145], v[146:147]
	v_mul_f64 v[154:155], v[232:233], s[20:21]
	v_fma_f64 v[166:167], v[212:213], s[42:43], -v[162:163]
	v_add_f64 v[2:3], v[244:245], v[2:3]
	v_add_f64 v[146:147], v[130:131], v[144:145]
	v_mul_f64 v[130:131], v[238:239], s[34:35]
	v_fma_f64 v[158:159], v[220:221], s[10:11], -v[154:155]
	v_add_f64 v[2:3], v[166:167], v[2:3]
	v_fma_f64 v[144:145], v[228:229], s[26:27], -v[130:131]
	v_add_f64 v[2:3], v[158:159], v[2:3]
	v_fmac_f64_e32 v[0:1], s[36:37], v[178:179]
	v_add_f64 v[144:145], v[144:145], v[2:3]
	v_fma_f64 v[2:3], v[234:235], s[26:27], -v[128:129]
	v_fma_f64 v[128:129], v[226:227], s[10:11], -v[148:149]
	;; [unrolled: 1-line block ×7, first 2 shown]
	v_fmac_f64_e32 v[254:255], s[16:17], v[182:183]
	v_add_f64 v[0:1], v[100:101], v[0:1]
	v_fma_f64 v[158:159], v[186:187], s[16:17], -v[164:165]
	v_add_f64 v[160:161], v[102:103], v[160:161]
	v_fmac_f64_e32 v[250:251], s[22:23], v[188:189]
	v_add_f64 v[0:1], v[254:255], v[0:1]
	v_add_f64 v[158:159], v[158:159], v[160:161]
	v_fmac_f64_e32 v[246:247], s[30:31], v[196:197]
	v_add_f64 v[0:1], v[250:251], v[0:1]
	v_mul_f64 v[176:177], v[190:191], s[50:51]
	v_accvgpr_write_b32 a2, v42
	v_add_f64 v[156:157], v[156:157], v[158:159]
	v_fmac_f64_e32 v[170:171], s[2:3], v[204:205]
	v_add_f64 v[0:1], v[246:247], v[0:1]
	v_mul_f64 v[168:169], v[198:199], s[14:15]
	v_fma_f64 v[244:245], s[42:43], v[180:181], v[176:177]
	v_accvgpr_write_b32 a1, v40
	v_accvgpr_write_b32 a3, v43
	;; [unrolled: 1-line block ×5, first 2 shown]
	v_mov_b64_e32 v[42:43], v[24:25]
	v_add_f64 v[152:153], v[152:153], v[156:157]
	v_add_f64 v[0:1], v[170:171], v[0:1]
	v_mul_f64 v[164:165], v[206:207], s[56:57]
	v_fma_f64 v[170:171], s[2:3], v[186:187], v[168:169]
	v_add_f64 v[244:245], v[102:103], v[244:245]
	v_accvgpr_write_b32 a25, v243
	v_mov_b32_e32 v243, v9
	v_mul_f64 v[8:9], v[184:185], s[50:51]
	v_mov_b64_e32 v[40:41], v[22:23]
	v_mov_b64_e32 v[26:27], v[12:13]
	v_add_f64 v[150:151], v[150:151], v[152:153]
	v_fmac_f64_e32 v[162:163], s[42:43], v[212:213]
	v_mul_f64 v[160:161], v[214:215], s[38:39]
	v_fma_f64 v[166:167], s[36:37], v[194:195], v[164:165]
	v_add_f64 v[170:171], v[170:171], v[244:245]
	v_mul_f64 v[4:5], v[192:193], s[14:15]
	v_mov_b64_e32 v[24:25], v[10:11]
	v_fma_f64 v[10:11], v[178:179], s[42:43], -v[8:9]
	v_add_f64 v[148:149], v[148:149], v[150:151]
	v_fmac_f64_e32 v[154:155], s[10:11], v[220:221]
	v_add_f64 v[0:1], v[162:163], v[0:1]
	v_mul_f64 v[158:159], v[222:223], s[40:41]
	v_fma_f64 v[162:163], s[10:11], v[202:203], v[160:161]
	v_add_f64 v[166:167], v[166:167], v[170:171]
	v_mul_f64 v[252:253], v[200:201], s[56:57]
	v_fma_f64 v[6:7], v[182:183], s[2:3], -v[4:5]
	v_add_f64 v[10:11], v[100:101], v[10:11]
	v_add_f64 v[128:129], v[128:129], v[148:149]
	;; [unrolled: 1-line block ×3, first 2 shown]
	v_mul_f64 v[156:157], v[230:231], s[24:25]
	v_fma_f64 v[154:155], s[30:31], v[210:211], v[158:159]
	v_add_f64 v[162:163], v[162:163], v[166:167]
	v_mul_f64 v[248:249], v[208:209], s[38:39]
	v_fma_f64 v[254:255], v[188:189], s[36:37], -v[252:253]
	v_add_f64 v[6:7], v[6:7], v[10:11]
	v_add_f64 v[150:151], v[2:3], v[128:129]
	v_fmac_f64_e32 v[130:131], s[26:27], v[228:229]
	v_mul_f64 v[128:129], v[236:237], s[58:59]
	v_fma_f64 v[152:153], s[16:17], v[218:219], v[156:157]
	v_add_f64 v[154:155], v[154:155], v[162:163]
	v_mul_f64 v[244:245], v[216:217], s[40:41]
	v_fma_f64 v[250:251], v[196:197], s[10:11], -v[248:249]
	v_add_f64 v[6:7], v[254:255], v[6:7]
	v_add_f64 v[148:149], v[130:131], v[0:1]
	v_mul_f64 v[0:1], v[240:241], s[54:55]
	v_fma_f64 v[130:131], s[26:27], v[226:227], v[128:129]
	v_add_f64 v[152:153], v[152:153], v[154:155]
	v_mul_f64 v[170:171], v[224:225], s[24:25]
	v_fma_f64 v[246:247], v[204:205], s[30:31], -v[244:245]
	v_add_f64 v[6:7], v[250:251], v[6:7]
	v_fma_f64 v[2:3], s[22:23], v[234:235], v[0:1]
	v_add_f64 v[130:131], v[130:131], v[152:153]
	v_mul_f64 v[166:167], v[232:233], s[58:59]
	v_fma_f64 v[162:163], v[212:213], s[16:17], -v[170:171]
	v_add_f64 v[6:7], v[246:247], v[6:7]
	v_add_f64 v[154:155], v[2:3], v[130:131]
	v_mul_f64 v[2:3], v[238:239], s[54:55]
	v_fma_f64 v[152:153], v[220:221], s[26:27], -v[166:167]
	v_add_f64 v[6:7], v[162:163], v[6:7]
	v_fma_f64 v[130:131], v[228:229], s[22:23], -v[2:3]
	v_add_f64 v[6:7], v[152:153], v[6:7]
	v_add_f64 v[152:153], v[130:131], v[6:7]
	v_fma_f64 v[130:131], v[202:203], s[10:11], -v[160:161]
	v_fma_f64 v[160:161], v[180:181], s[42:43], -v[176:177]
	;; [unrolled: 1-line block ×5, first 2 shown]
	v_add_f64 v[160:161], v[102:103], v[160:161]
	v_fma_f64 v[10:11], v[218:219], s[16:17], -v[156:157]
	v_fma_f64 v[156:157], v[194:195], s[36:37], -v[164:165]
	v_add_f64 v[158:159], v[158:159], v[160:161]
	v_add_f64 v[156:157], v[156:157], v[158:159]
	;; [unrolled: 1-line block ×5, first 2 shown]
	v_fma_f64 v[0:1], v[234:235], s[22:23], -v[0:1]
	v_add_f64 v[6:7], v[6:7], v[10:11]
	v_fmac_f64_e32 v[8:9], s[42:43], v[178:179]
	v_add_f64 v[162:163], v[0:1], v[6:7]
	v_fmac_f64_e32 v[4:5], s[2:3], v[182:183]
	;; [unrolled: 2-line block ×6, first 2 shown]
	v_add_f64 v[0:1], v[244:245], v[0:1]
	v_mul_f64 v[176:177], v[190:191], s[40:41]
	v_fmac_f64_e32 v[166:167], s[26:27], v[220:221]
	v_add_f64 v[0:1], v[170:171], v[0:1]
	v_mul_f64 v[168:169], v[198:199], s[34:35]
	v_fma_f64 v[244:245], s[30:31], v[180:181], v[176:177]
	v_accvgpr_write_b32 a23, v46
	v_accvgpr_write_b32 a24, v47
	v_mov_b64_e32 v[46:47], v[30:31]
	v_add_f64 v[0:1], v[166:167], v[0:1]
	v_mul_f64 v[166:167], v[206:207], s[48:49]
	v_fma_f64 v[170:171], s[26:27], v[186:187], v[168:169]
	v_add_f64 v[244:245], v[102:103], v[244:245]
	v_mov_b64_e32 v[44:45], v[28:29]
	v_accvgpr_write_b32 a26, v48
	v_mul_f64 v[28:29], v[184:185], s[40:41]
	v_mul_f64 v[164:165], v[214:215], s[56:57]
	v_fma_f64 v[158:159], s[2:3], v[194:195], v[166:167]
	v_add_f64 v[170:171], v[170:171], v[244:245]
	v_mul_f64 v[12:13], v[192:193], s[34:35]
	v_accvgpr_write_b32 a27, v49
	v_accvgpr_write_b32 a28, v50
	;; [unrolled: 1-line block ×3, first 2 shown]
	v_mov_b64_e32 v[50:51], v[16:17]
	v_fma_f64 v[30:31], v[178:179], s[30:31], -v[28:29]
	v_mul_f64 v[128:129], v[222:223], s[54:55]
	v_fma_f64 v[156:157], s[36:37], v[202:203], v[164:165]
	v_add_f64 v[158:159], v[158:159], v[170:171]
	v_mul_f64 v[252:253], v[200:201], s[48:49]
	v_mov_b64_e32 v[48:49], v[14:15]
	v_fma_f64 v[14:15], v[182:183], s[26:27], -v[12:13]
	v_add_f64 v[30:31], v[100:101], v[30:31]
	v_mul_f64 v[8:9], v[230:231], s[20:21]
	v_fma_f64 v[130:131], s[22:23], v[210:211], v[128:129]
	v_add_f64 v[156:157], v[156:157], v[158:159]
	v_mul_f64 v[248:249], v[208:209], s[56:57]
	v_fma_f64 v[254:255], v[188:189], s[2:3], -v[252:253]
	v_add_f64 v[14:15], v[14:15], v[30:31]
	v_fmac_f64_e32 v[2:3], s[22:23], v[228:229]
	v_mul_f64 v[4:5], v[236:237], s[50:51]
	v_fma_f64 v[10:11], s[10:11], v[218:219], v[8:9]
	v_add_f64 v[130:131], v[130:131], v[156:157]
	v_mul_f64 v[246:247], v[216:217], s[54:55]
	v_fma_f64 v[250:251], v[196:197], s[36:37], -v[248:249]
	v_add_f64 v[14:15], v[254:255], v[14:15]
	v_add_f64 v[160:161], v[2:3], v[0:1]
	v_mul_f64 v[0:1], v[240:241], s[24:25]
	v_fma_f64 v[6:7], s[42:43], v[226:227], v[4:5]
	v_add_f64 v[10:11], v[10:11], v[130:131]
	v_mul_f64 v[244:245], v[224:225], s[20:21]
	v_fma_f64 v[170:171], v[204:205], s[22:23], -v[246:247]
	v_add_f64 v[14:15], v[250:251], v[14:15]
	v_fma_f64 v[2:3], s[16:17], v[234:235], v[0:1]
	v_add_f64 v[6:7], v[6:7], v[10:11]
	v_mul_f64 v[10:11], v[232:233], s[50:51]
	v_fma_f64 v[156:157], v[212:213], s[10:11], -v[244:245]
	v_add_f64 v[14:15], v[170:171], v[14:15]
	v_add_f64 v[158:159], v[2:3], v[6:7]
	v_mul_f64 v[2:3], v[238:239], s[24:25]
	v_fma_f64 v[130:131], v[220:221], s[42:43], -v[10:11]
	v_add_f64 v[14:15], v[156:157], v[14:15]
	v_fma_f64 v[6:7], v[228:229], s[16:17], -v[2:3]
	v_add_f64 v[14:15], v[130:131], v[14:15]
	;; [unrolled: 2-line block ×3, first 2 shown]
	v_fma_f64 v[6:7], v[218:219], s[10:11], -v[8:9]
	v_fma_f64 v[8:9], v[210:211], s[22:23], -v[128:129]
	v_fma_f64 v[128:129], v[186:187], s[26:27], -v[168:169]
	v_add_f64 v[130:131], v[102:103], v[130:131]
	v_fma_f64 v[30:31], v[194:195], s[2:3], -v[166:167]
	v_add_f64 v[128:129], v[128:129], v[130:131]
	v_fma_f64 v[14:15], v[202:203], s[36:37], -v[164:165]
	v_add_f64 v[30:31], v[30:31], v[128:129]
	v_add_f64 v[14:15], v[14:15], v[30:31]
	;; [unrolled: 1-line block ×3, first 2 shown]
	v_fma_f64 v[4:5], v[226:227], s[42:43], -v[4:5]
	v_add_f64 v[6:7], v[6:7], v[8:9]
	v_fma_f64 v[0:1], v[234:235], s[16:17], -v[0:1]
	v_add_f64 v[4:5], v[4:5], v[6:7]
	v_fmac_f64_e32 v[28:29], s[30:31], v[178:179]
	v_add_f64 v[170:171], v[0:1], v[4:5]
	v_fmac_f64_e32 v[12:13], s[26:27], v[182:183]
	;; [unrolled: 2-line block ×6, first 2 shown]
	v_add_f64 v[0:1], v[246:247], v[0:1]
	v_add_f64 v[0:1], v[244:245], v[0:1]
	v_mul_f64 v[244:245], v[190:191], s[28:29]
	v_accvgpr_write_b32 a10, v36
	v_mul_f64 v[176:177], v[198:199], s[50:51]
	v_fma_f64 v[166:167], s[22:23], v[180:181], v[244:245]
	v_accvgpr_write_b32 a11, v37
	v_accvgpr_write_b32 a12, v38
	v_accvgpr_write_b32 a13, v39
	v_mov_b64_e32 v[38:39], v[20:21]
	v_mul_f64 v[128:129], v[206:207], s[34:35]
	v_fma_f64 v[164:165], s[42:43], v[186:187], v[176:177]
	v_add_f64 v[166:167], v[102:103], v[166:167]
	v_mov_b64_e32 v[36:37], v[18:19]
	v_mul_f64 v[20:21], v[184:185], s[28:29]
	v_mul_f64 v[28:29], v[214:215], s[14:15]
	v_fma_f64 v[130:131], s[26:27], v[194:195], v[128:129]
	v_add_f64 v[164:165], v[164:165], v[166:167]
	v_mul_f64 v[16:17], v[192:193], s[50:51]
	v_fma_f64 v[22:23], v[178:179], s[22:23], -v[20:21]
	v_mul_f64 v[12:13], v[222:223], s[44:45]
	v_fma_f64 v[30:31], s[2:3], v[202:203], v[28:29]
	v_add_f64 v[130:131], v[130:131], v[164:165]
	v_mul_f64 v[252:253], v[200:201], s[34:35]
	v_fma_f64 v[18:19], v[182:183], s[42:43], -v[16:17]
	v_add_f64 v[22:23], v[100:101], v[22:23]
	v_fmac_f64_e32 v[10:11], s[42:43], v[220:221]
	v_mul_f64 v[8:9], v[230:231], s[56:57]
	v_fma_f64 v[14:15], s[16:17], v[210:211], v[12:13]
	v_add_f64 v[30:31], v[30:31], v[130:131]
	v_mul_f64 v[248:249], v[208:209], s[14:15]
	v_fma_f64 v[254:255], v[188:189], s[26:27], -v[252:253]
	v_add_f64 v[18:19], v[18:19], v[22:23]
	v_fmac_f64_e32 v[2:3], s[16:17], v[228:229]
	v_add_f64 v[0:1], v[10:11], v[0:1]
	v_mul_f64 v[4:5], v[236:237], s[52:53]
	v_fma_f64 v[10:11], s[36:37], v[218:219], v[8:9]
	v_add_f64 v[14:15], v[14:15], v[30:31]
	v_mul_f64 v[246:247], v[216:217], s[44:45]
	v_fma_f64 v[250:251], v[196:197], s[2:3], -v[248:249]
	v_add_f64 v[18:19], v[254:255], v[18:19]
	v_add_f64 v[168:169], v[2:3], v[0:1]
	v_mul_f64 v[0:1], v[240:241], s[38:39]
	v_fma_f64 v[6:7], s[30:31], v[226:227], v[4:5]
	v_add_f64 v[10:11], v[10:11], v[14:15]
	v_mul_f64 v[30:31], v[224:225], s[56:57]
	v_fma_f64 v[164:165], v[204:205], s[16:17], -v[246:247]
	v_add_f64 v[18:19], v[250:251], v[18:19]
	v_fma_f64 v[2:3], s[10:11], v[234:235], v[0:1]
	v_add_f64 v[6:7], v[6:7], v[10:11]
	v_mul_f64 v[10:11], v[232:233], s[52:53]
	v_fma_f64 v[130:131], v[212:213], s[36:37], -v[30:31]
	v_add_f64 v[18:19], v[164:165], v[18:19]
	v_add_f64 v[166:167], v[2:3], v[6:7]
	v_mul_f64 v[2:3], v[238:239], s[38:39]
	v_fma_f64 v[14:15], v[220:221], s[30:31], -v[10:11]
	v_add_f64 v[18:19], v[130:131], v[18:19]
	v_fma_f64 v[22:23], v[180:181], s[22:23], -v[244:245]
	v_fma_f64 v[6:7], v[228:229], s[10:11], -v[2:3]
	v_add_f64 v[14:15], v[14:15], v[18:19]
	v_fma_f64 v[18:19], v[186:187], s[42:43], -v[176:177]
	v_add_f64 v[22:23], v[102:103], v[22:23]
	v_add_f64 v[164:165], v[6:7], v[14:15]
	v_fma_f64 v[14:15], v[194:195], s[26:27], -v[128:129]
	v_add_f64 v[18:19], v[18:19], v[22:23]
	v_fma_f64 v[6:7], v[218:219], s[36:37], -v[8:9]
	v_fma_f64 v[8:9], v[210:211], s[16:17], -v[12:13]
	v_fma_f64 v[12:13], v[202:203], s[2:3], -v[28:29]
	v_add_f64 v[14:15], v[14:15], v[18:19]
	v_add_f64 v[12:13], v[12:13], v[14:15]
	;; [unrolled: 1-line block ×3, first 2 shown]
	v_fma_f64 v[4:5], v[226:227], s[30:31], -v[4:5]
	v_add_f64 v[6:7], v[6:7], v[8:9]
	v_fma_f64 v[0:1], v[234:235], s[10:11], -v[0:1]
	v_add_f64 v[4:5], v[4:5], v[6:7]
	v_fmac_f64_e32 v[20:21], s[22:23], v[178:179]
	v_add_f64 v[250:251], v[0:1], v[4:5]
	v_fmac_f64_e32 v[16:17], s[42:43], v[182:183]
	v_add_f64 v[0:1], v[100:101], v[20:21]
	v_fmac_f64_e32 v[252:253], s[26:27], v[188:189]
	v_add_f64 v[0:1], v[16:17], v[0:1]
	v_fmac_f64_e32 v[248:249], s[2:3], v[196:197]
	v_add_f64 v[0:1], v[252:253], v[0:1]
	v_fmac_f64_e32 v[246:247], s[16:17], v[204:205]
	v_add_f64 v[0:1], v[248:249], v[0:1]
	v_mul_f64 v[128:129], v[190:191], s[20:21]
	v_fmac_f64_e32 v[30:31], s[36:37], v[212:213]
	v_add_f64 v[0:1], v[246:247], v[0:1]
	v_mul_f64 v[28:29], v[198:199], s[28:29]
	v_fma_f64 v[130:131], s[10:11], v[180:181], v[128:129]
	v_add_f64 v[0:1], v[30:31], v[0:1]
	v_mul_f64 v[20:21], v[206:207], s[40:41]
	v_fma_f64 v[30:31], s[22:23], v[186:187], v[28:29]
	v_add_f64 v[130:131], v[102:103], v[130:131]
	v_mul_f64 v[184:185], v[184:185], s[20:21]
	v_mul_f64 v[16:17], v[214:215], s[50:51]
	v_fma_f64 v[22:23], s[30:31], v[194:195], v[20:21]
	v_add_f64 v[30:31], v[30:31], v[130:131]
	v_mul_f64 v[176:177], v[208:209], s[50:51]
	v_mul_f64 v[192:193], v[192:193], s[28:29]
	v_fma_f64 v[208:209], v[178:179], s[10:11], -v[184:185]
	v_mul_f64 v[12:13], v[222:223], s[46:47]
	v_fma_f64 v[18:19], s[42:43], v[202:203], v[16:17]
	v_add_f64 v[22:23], v[22:23], v[30:31]
	v_mul_f64 v[198:199], v[200:201], s[40:41]
	v_fma_f64 v[206:207], v[182:183], s[22:23], -v[192:193]
	v_add_f64 v[208:209], v[100:101], v[208:209]
	v_fmac_f64_e32 v[10:11], s[30:31], v[220:221]
	v_mul_f64 v[8:9], v[230:231], s[34:35]
	v_fma_f64 v[14:15], s[36:37], v[210:211], v[12:13]
	v_add_f64 v[18:19], v[18:19], v[22:23]
	v_fma_f64 v[200:201], v[188:189], s[30:31], -v[198:199]
	v_add_f64 v[206:207], v[206:207], v[208:209]
	v_fmac_f64_e32 v[2:3], s[10:11], v[228:229]
	v_add_f64 v[0:1], v[10:11], v[0:1]
	v_mul_f64 v[4:5], v[236:237], s[24:25]
	v_fma_f64 v[10:11], s[26:27], v[218:219], v[8:9]
	v_add_f64 v[14:15], v[14:15], v[18:19]
	v_mul_f64 v[30:31], v[216:217], s[46:47]
	v_fma_f64 v[190:191], v[196:197], s[42:43], -v[176:177]
	v_add_f64 v[200:201], v[200:201], v[206:207]
	v_add_f64 v[248:249], v[2:3], v[0:1]
	v_mul_f64 v[0:1], v[240:241], s[14:15]
	v_fma_f64 v[6:7], s[16:17], v[226:227], v[4:5]
	v_add_f64 v[10:11], v[10:11], v[14:15]
	v_mul_f64 v[18:19], v[224:225], s[34:35]
	v_fma_f64 v[130:131], v[204:205], s[36:37], -v[30:31]
	v_add_f64 v[190:191], v[190:191], v[200:201]
	v_fma_f64 v[2:3], s[2:3], v[234:235], v[0:1]
	v_add_f64 v[6:7], v[6:7], v[10:11]
	v_mul_f64 v[10:11], v[232:233], s[24:25]
	v_fma_f64 v[22:23], v[212:213], s[26:27], -v[18:19]
	v_add_f64 v[130:131], v[130:131], v[190:191]
	v_add_f64 v[240:241], v[2:3], v[6:7]
	v_mul_f64 v[2:3], v[238:239], s[14:15]
	v_fma_f64 v[14:15], v[220:221], s[16:17], -v[10:11]
	v_add_f64 v[22:23], v[22:23], v[130:131]
	v_fma_f64 v[6:7], v[228:229], s[2:3], -v[2:3]
	v_add_f64 v[14:15], v[14:15], v[22:23]
	v_add_f64 v[238:239], v[6:7], v[14:15]
	v_fma_f64 v[14:15], v[194:195], s[30:31], -v[20:21]
	v_fma_f64 v[20:21], v[180:181], s[10:11], -v[128:129]
	;; [unrolled: 1-line block ×6, first 2 shown]
	v_add_f64 v[20:21], v[102:103], v[20:21]
	v_add_f64 v[16:17], v[16:17], v[20:21]
	;; [unrolled: 1-line block ×5, first 2 shown]
	v_fma_f64 v[4:5], v[226:227], s[16:17], -v[4:5]
	v_add_f64 v[6:7], v[6:7], v[8:9]
	v_fma_f64 v[0:1], v[234:235], s[2:3], -v[0:1]
	v_add_f64 v[4:5], v[4:5], v[6:7]
	v_fmac_f64_e32 v[184:185], s[10:11], v[178:179]
	v_add_f64 v[180:181], v[0:1], v[4:5]
	v_fmac_f64_e32 v[192:193], s[22:23], v[182:183]
	;; [unrolled: 2-line block ×8, first 2 shown]
	v_add_f64 v[0:1], v[10:11], v[0:1]
	v_add_f64 v[178:179], v[2:3], v[0:1]
	;; [unrolled: 1-line block ×12, first 2 shown]
	v_accvgpr_read_b32 v4, a34
	v_add_f64 v[0:1], v[0:1], v[46:47]
	v_accvgpr_read_b32 v6, a36
	v_accvgpr_read_b32 v7, a37
	v_add_f64 v[0:1], v[0:1], v[6:7]
	v_add_f64 v[0:1], v[0:1], v[42:43]
	;; [unrolled: 1-line block ×15, first 2 shown]
	v_accvgpr_read_b32 v5, a35
	v_add_f64 v[0:1], v[0:1], v[44:45]
	v_add_f64 v[0:1], v[0:1], v[4:5]
	;; [unrolled: 1-line block ×4, first 2 shown]
	v_mov_b32_e32 v176, v175
	v_add_f64 v[0:1], v[0:1], v[48:49]
	v_add_f64 v[0:1], v[0:1], v[24:25]
	v_lshl_add_u32 v4, v243, 4, v176
	v_accvgpr_read_b32 v45, a5
	v_accvgpr_read_b32 v39, a13
	;; [unrolled: 1-line block ×3, first 2 shown]
	ds_write_b128 v4, v[0:3]
	ds_write_b128 v4, v[178:181] offset:16
	ds_write_b128 v4, v[248:251] offset:32
	v_accvgpr_read_b32 v253, a21
	ds_write_b128 v4, v[168:171] offset:48
	v_accvgpr_read_b32 v171, a17
	ds_write_b128 v4, v[160:163] offset:64
	ds_write_b128 v4, v[148:151] offset:80
	ds_write_b128 v4, v[140:143] offset:96
	ds_write_b128 v4, v[132:135] offset:112
	ds_write_b128 v4, v[120:123] offset:128
	ds_write_b128 v4, v[124:127] offset:144
	ds_write_b128 v4, a[30:33] offset:160
	ds_write_b128 v4, v[136:139] offset:176
	ds_write_b128 v4, v[144:147] offset:192
	ds_write_b128 v4, v[152:155] offset:208
	ds_write_b128 v4, v[156:159] offset:224
	ds_write_b128 v4, v[164:167] offset:240
	v_accvgpr_read_b32 v167, a9
	v_accvgpr_read_b32 v47, a24
	;; [unrolled: 1-line block ×24, first 2 shown]
	ds_write_b128 v4, v[238:241] offset:256
.LBB0_17:
	s_or_b64 exec, exec, s[18:19]
	s_waitcnt lgkmcnt(0)
	s_barrier
	ds_read_b128 v[12:15], v242
	ds_read_b128 v[8:11], v242 offset:544
	ds_read_b128 v[80:83], v242 offset:2448
	ds_read_b128 v[24:27], v242 offset:2992
	ds_read_b128 v[4:7], v242 offset:1088
	ds_read_b128 v[0:3], v242 offset:1632
	ds_read_b128 v[20:23], v242 offset:3536
	ds_read_b128 v[16:19], v242 offset:4080
	s_and_saveexec_b64 s[2:3], s[0:1]
	s_cbranch_execz .LBB0_19
; %bb.18:
	ds_read_b128 v[120:123], v242 offset:2176
	ds_read_b128 v[124:127], v242 offset:4624
.LBB0_19:
	s_or_b64 exec, exec, s[2:3]
	s_waitcnt lgkmcnt(5)
	v_mul_f64 v[28:29], v[38:39], v[82:83]
	v_mul_f64 v[30:31], v[38:39], v[80:81]
	v_fmac_f64_e32 v[28:29], v[36:37], v[80:81]
	v_fma_f64 v[30:31], v[36:37], v[82:83], -v[30:31]
	s_waitcnt lgkmcnt(4)
	v_mul_f64 v[36:37], v[166:167], v[26:27]
	v_fmac_f64_e32 v[36:37], v[164:165], v[24:25]
	v_mul_f64 v[24:25], v[166:167], v[24:25]
	v_fma_f64 v[24:25], v[164:165], v[26:27], -v[24:25]
	s_waitcnt lgkmcnt(1)
	v_mul_f64 v[26:27], v[252:253], v[22:23]
	s_waitcnt lgkmcnt(0)
	v_mul_f64 v[34:35], v[170:171], v[18:19]
	v_fmac_f64_e32 v[26:27], v[250:251], v[20:21]
	v_mul_f64 v[20:21], v[252:253], v[20:21]
	v_fmac_f64_e32 v[34:35], v[168:169], v[16:17]
	v_mul_f64 v[16:17], v[170:171], v[16:17]
	v_fma_f64 v[32:33], v[250:251], v[22:23], -v[20:21]
	v_fma_f64 v[38:39], v[168:169], v[18:19], -v[16:17]
	v_add_f64 v[16:17], v[12:13], -v[28:29]
	v_add_f64 v[18:19], v[14:15], -v[30:31]
	v_fma_f64 v[12:13], v[12:13], 2.0, -v[16:17]
	v_fma_f64 v[14:15], v[14:15], 2.0, -v[18:19]
	v_add_f64 v[20:21], v[8:9], -v[36:37]
	v_add_f64 v[22:23], v[10:11], -v[24:25]
	;; [unrolled: 1-line block ×6, first 2 shown]
	v_fma_f64 v[8:9], v[8:9], 2.0, -v[20:21]
	v_fma_f64 v[10:11], v[10:11], 2.0, -v[22:23]
	;; [unrolled: 1-line block ×6, first 2 shown]
	s_barrier
	ds_write_b128 v41, v[12:15]
	ds_write_b128 v41, v[16:19] offset:272
	ds_write_b128 v46, v[8:11]
	ds_write_b128 v46, v[20:23] offset:272
	;; [unrolled: 2-line block ×4, first 2 shown]
	s_and_saveexec_b64 s[2:3], s[0:1]
	s_cbranch_execz .LBB0_21
; %bb.20:
	v_mul_f64 v[0:1], v[44:45], v[124:125]
	v_fma_f64 v[0:1], v[42:43], v[126:127], -v[0:1]
	v_add_f64 v[2:3], v[122:123], -v[0:1]
	v_mul_f64 v[0:1], v[44:45], v[126:127]
	v_fmac_f64_e32 v[0:1], v[42:43], v[124:125]
	v_add_f64 v[0:1], v[120:121], -v[0:1]
	v_and_b32_e32 v8, 0xff, v40
	v_fma_f64 v[6:7], v[122:123], 2.0, -v[2:3]
	v_fma_f64 v[4:5], v[120:121], 2.0, -v[0:1]
	v_lshl_add_u32 v8, v8, 4, v176
	ds_write_b128 v8, v[4:7] offset:4352
	ds_write_b128 v8, v[0:3] offset:4624
.LBB0_21:
	s_or_b64 exec, exec, s[2:3]
	s_waitcnt lgkmcnt(0)
	s_barrier
	ds_read_b128 v[0:3], v242
	ds_read_b128 v[4:7], v242 offset:544
	ds_read_b128 v[8:11], v242 offset:1088
	;; [unrolled: 1-line block ×8, first 2 shown]
	s_waitcnt lgkmcnt(7)
	v_mul_f64 v[36:37], v[62:63], v[6:7]
	v_fmac_f64_e32 v[36:37], v[60:61], v[4:5]
	v_mul_f64 v[4:5], v[62:63], v[4:5]
	v_fma_f64 v[4:5], v[60:61], v[6:7], -v[4:5]
	s_waitcnt lgkmcnt(6)
	v_mul_f64 v[6:7], v[58:59], v[10:11]
	v_fmac_f64_e32 v[6:7], v[56:57], v[8:9]
	v_mul_f64 v[8:9], v[58:59], v[8:9]
	v_fma_f64 v[8:9], v[56:57], v[10:11], -v[8:9]
	;; [unrolled: 5-line block ×3, first 2 shown]
	s_waitcnt lgkmcnt(4)
	v_mul_f64 v[14:15], v[50:51], v[16:17]
	v_fma_f64 v[40:41], v[48:49], v[18:19], -v[14:15]
	s_waitcnt lgkmcnt(3)
	v_mul_f64 v[14:15], v[78:79], v[20:21]
	v_mul_f64 v[38:39], v[50:51], v[18:19]
	v_fma_f64 v[44:45], v[76:77], v[22:23], -v[14:15]
	s_waitcnt lgkmcnt(2)
	v_mul_f64 v[14:15], v[74:75], v[26:27]
	v_fmac_f64_e32 v[38:39], v[48:49], v[16:17]
	v_mul_f64 v[42:43], v[78:79], v[22:23]
	v_fmac_f64_e32 v[14:15], v[72:73], v[24:25]
	v_mul_f64 v[16:17], v[74:75], v[24:25]
	s_waitcnt lgkmcnt(0)
	v_mul_f64 v[22:23], v[66:67], v[34:35]
	v_mul_f64 v[24:25], v[66:67], v[32:33]
	v_fmac_f64_e32 v[42:43], v[76:77], v[20:21]
	v_mul_f64 v[18:19], v[70:71], v[30:31]
	v_mul_f64 v[20:21], v[70:71], v[28:29]
	v_fmac_f64_e32 v[22:23], v[64:65], v[32:33]
	v_fma_f64 v[24:25], v[64:65], v[34:35], -v[24:25]
	s_mov_b32 s14, 0xa2cf5039
	v_fmac_f64_e32 v[18:19], v[68:69], v[28:29]
	v_fma_f64 v[20:21], v[68:69], v[30:31], -v[20:21]
	v_add_f64 v[32:33], v[36:37], v[22:23]
	v_add_f64 v[30:31], v[4:5], -v[24:25]
	s_mov_b32 s1, 0x3fe491b7
	s_mov_b32 s0, 0x523c161c
	;; [unrolled: 1-line block ×5, first 2 shown]
	v_fma_f64 v[16:17], v[72:73], v[26:27], -v[16:17]
	v_add_f64 v[34:35], v[4:5], v[24:25]
	v_add_f64 v[46:47], v[6:7], v[18:19]
	;; [unrolled: 1-line block ×3, first 2 shown]
	v_add_f64 v[28:29], v[36:37], -v[22:23]
	v_add_f64 v[54:55], v[8:9], -v[20:21]
	;; [unrolled: 1-line block ×3, first 2 shown]
	v_mul_f64 v[10:11], v[30:31], s[0:1]
	s_mov_b32 s3, 0x3fef838b
	s_mov_b32 s10, 0xe8584cab
	v_fma_f64 v[4:5], s[14:15], v[32:33], v[0:1]
	s_mov_b32 s17, 0x3fc63a1a
	v_add_f64 v[48:49], v[8:9], v[20:21]
	v_add_f64 v[52:53], v[12:13], v[16:17]
	v_add_f64 v[36:37], v[6:7], -v[18:19]
	v_add_f64 v[58:59], v[12:13], -v[16:17]
	v_mul_f64 v[12:13], v[28:29], s[0:1]
	v_fmac_f64_e32 v[10:11], s[2:3], v[54:55]
	s_mov_b32 s11, 0x3febb67a
	s_mov_b32 s18, 0x748a0bf8
	v_fma_f64 v[6:7], s[14:15], v[34:35], v[2:3]
	v_fmac_f64_e32 v[4:5], s[16:17], v[46:47]
	s_mov_b32 s20, 0x42522d1b
	v_fmac_f64_e32 v[12:13], s[2:3], v[36:37]
	v_fmac_f64_e32 v[10:11], s[10:11], v[58:59]
	v_add_f64 v[62:63], v[40:41], -v[44:45]
	s_mov_b32 s19, 0x3fd5e3a8
	v_fmac_f64_e32 v[6:7], s[16:17], v[48:49]
	v_fmac_f64_e32 v[4:5], -0.5, v[50:51]
	v_add_f64 v[64:65], v[38:39], v[42:43]
	s_mov_b32 s21, 0xbfee11f6
	v_fmac_f64_e32 v[12:13], s[10:11], v[56:57]
	v_add_f64 v[60:61], v[38:39], -v[42:43]
	v_fmac_f64_e32 v[10:11], s[18:19], v[62:63]
	v_fmac_f64_e32 v[6:7], -0.5, v[52:53]
	v_add_f64 v[66:67], v[40:41], v[44:45]
	v_fmac_f64_e32 v[4:5], s[20:21], v[64:65]
	v_fmac_f64_e32 v[12:13], s[18:19], v[60:61]
	;; [unrolled: 1-line block ×3, first 2 shown]
	v_add_f64 v[4:5], v[4:5], -v[10:11]
	v_add_f64 v[6:7], v[12:13], v[6:7]
	v_mov_b64_e32 v[8:9], v[4:5]
	v_fmac_f64_e32 v[8:9], 2.0, v[10:11]
	v_mov_b64_e32 v[10:11], v[6:7]
	s_mov_b32 s1, 0xbfe491b7
	v_fmac_f64_e32 v[10:11], -2.0, v[12:13]
	v_mul_f64 v[18:19], v[62:63], s[0:1]
	v_fma_f64 v[12:13], s[14:15], v[64:65], v[0:1]
	v_mul_f64 v[20:21], v[60:61], s[0:1]
	v_fmac_f64_e32 v[18:19], s[2:3], v[30:31]
	s_mov_b32 s23, 0xbfebb67a
	s_mov_b32 s22, s10
	v_fma_f64 v[14:15], s[14:15], v[66:67], v[2:3]
	v_fmac_f64_e32 v[12:13], s[16:17], v[32:33]
	v_fmac_f64_e32 v[20:21], s[2:3], v[28:29]
	;; [unrolled: 1-line block ×4, first 2 shown]
	v_fmac_f64_e32 v[12:13], -0.5, v[50:51]
	v_fmac_f64_e32 v[20:21], s[22:23], v[56:57]
	v_fmac_f64_e32 v[18:19], s[18:19], v[54:55]
	v_fmac_f64_e32 v[14:15], -0.5, v[52:53]
	v_fmac_f64_e32 v[12:13], s[20:21], v[46:47]
	v_fmac_f64_e32 v[20:21], s[18:19], v[36:37]
	;; [unrolled: 1-line block ×3, first 2 shown]
	v_add_f64 v[12:13], v[12:13], -v[18:19]
	v_add_f64 v[14:15], v[20:21], v[14:15]
	v_mov_b64_e32 v[16:17], v[12:13]
	v_fmac_f64_e32 v[16:17], 2.0, v[18:19]
	v_mov_b64_e32 v[18:19], v[14:15]
	v_fmac_f64_e32 v[18:19], -2.0, v[20:21]
	v_add_f64 v[20:21], v[60:61], v[28:29]
	v_add_f64 v[22:23], v[62:63], v[30:31]
	v_mul_f64 v[60:61], v[60:61], s[2:3]
	v_mul_f64 v[62:63], v[62:63], s[2:3]
	v_add_f64 v[24:25], v[20:21], -v[36:37]
	v_add_f64 v[26:27], v[22:23], -v[54:55]
	v_fma_f64 v[36:37], v[36:37], s[0:1], -v[60:61]
	v_fma_f64 v[54:55], v[54:55], s[0:1], -v[62:63]
	v_add_f64 v[72:73], v[46:47], v[32:33]
	v_add_f64 v[74:75], v[48:49], v[34:35]
	v_fmac_f64_e32 v[36:37], s[10:11], v[56:57]
	v_fmac_f64_e32 v[54:55], s[10:11], v[58:59]
	;; [unrolled: 1-line block ×4, first 2 shown]
	v_add_f64 v[28:29], v[50:51], v[72:73]
	v_add_f64 v[30:31], v[52:53], v[74:75]
	;; [unrolled: 1-line block ×10, first 2 shown]
	v_fmac_f64_e32 v[0:1], s[14:15], v[46:47]
	v_fmac_f64_e32 v[2:3], s[14:15], v[48:49]
	;; [unrolled: 1-line block ×4, first 2 shown]
	v_add_f64 v[76:77], v[64:65], v[72:73]
	v_add_f64 v[78:79], v[66:67], v[74:75]
	v_fmac_f64_e32 v[0:1], -0.5, v[50:51]
	v_fmac_f64_e32 v[2:3], -0.5, v[52:53]
	;; [unrolled: 1-line block ×4, first 2 shown]
	v_fmac_f64_e32 v[0:1], s[20:21], v[32:33]
	v_fmac_f64_e32 v[2:3], s[20:21], v[34:35]
	;; [unrolled: 1-line block ×4, first 2 shown]
	v_add_f64 v[0:1], v[0:1], -v[54:55]
	v_add_f64 v[2:3], v[36:37], v[2:3]
	v_mul_f64 v[68:69], v[24:25], s[10:11]
	v_mul_f64 v[70:71], v[26:27], s[10:11]
	v_mov_b64_e32 v[24:25], v[20:21]
	v_mov_b64_e32 v[26:27], v[22:23]
	;; [unrolled: 1-line block ×4, first 2 shown]
	v_fmac_f64_e32 v[24:25], 2.0, v[70:71]
	v_fmac_f64_e32 v[26:27], -2.0, v[68:69]
	v_fmac_f64_e32 v[32:33], 2.0, v[54:55]
	v_fmac_f64_e32 v[34:35], -2.0, v[36:37]
	ds_write_b128 v173, v[28:31]
	ds_write_b128 v173, v[4:7] offset:544
	ds_write_b128 v173, v[12:15] offset:1088
	;; [unrolled: 1-line block ×8, first 2 shown]
	s_and_b64 s[0:1], exec, vcc
	v_accvgpr_read_b32 v22, a0
	s_waitcnt lgkmcnt(0)
	s_barrier
	s_mov_b64 exec, s[0:1]
	s_cbranch_execz .LBB0_23
; %bb.22:
	global_load_dwordx4 v[2:5], v174, s[8:9]
	v_mad_u64_u32 v[14:15], s[0:1], s6, v22, 0
	v_mad_u64_u32 v[16:17], s[2:3], s4, v172, 0
	ds_read_b128 v[6:9], v173
	ds_read_b128 v[10:13], v173 offset:288
	v_mov_b32_e32 v18, v15
	v_mov_b32_e32 v20, v17
	v_mad_u64_u32 v[18:19], s[2:3], s7, v22, v[18:19]
	v_mov_b32_e32 v0, s12
	v_mov_b32_e32 v1, s13
	v_mad_u64_u32 v[20:21], s[2:3], s5, v172, v[20:21]
	v_mov_b32_e32 v15, v18
	v_mov_b32_e32 v17, v20
	v_lshl_add_u64 v[0:1], v[14:15], 4, v[0:1]
	s_mov_b32 s0, 0x1ac5701b
	v_lshl_add_u64 v[14:15], v[16:17], 4, v[0:1]
	s_mov_b32 s1, 0x3f6ac570
	s_mul_i32 s2, s5, 0x120
	v_mov_b32_e32 v175, 0
	s_movk_i32 s3, 0x1000
	s_waitcnt vmcnt(0) lgkmcnt(1)
	v_mul_f64 v[16:17], v[8:9], v[4:5]
	v_mul_f64 v[4:5], v[6:7], v[4:5]
	v_fmac_f64_e32 v[16:17], v[6:7], v[2:3]
	v_fma_f64 v[4:5], v[2:3], v[8:9], -v[4:5]
	v_mul_f64 v[2:3], v[16:17], s[0:1]
	v_mul_f64 v[4:5], v[4:5], s[0:1]
	global_store_dwordx4 v[14:15], v[2:5], off
	global_load_dwordx4 v[4:7], v174, s[8:9] offset:288
	s_waitcnt vmcnt(0) lgkmcnt(0)
	v_mul_f64 v[8:9], v[12:13], v[6:7]
	v_mov_b32_e32 v2, 0x120
	v_mul_f64 v[6:7], v[10:11], v[6:7]
	v_mad_u64_u32 v[16:17], s[6:7], s4, v2, v[14:15]
	v_fmac_f64_e32 v[8:9], v[10:11], v[4:5]
	v_fma_f64 v[6:7], v[4:5], v[12:13], -v[6:7]
	v_add_u32_e32 v17, s2, v17
	v_mul_f64 v[4:5], v[8:9], s[0:1]
	v_mul_f64 v[6:7], v[6:7], s[0:1]
	global_store_dwordx4 v[16:17], v[4:7], off
	global_load_dwordx4 v[4:7], v174, s[8:9] offset:576
	ds_read_b128 v[8:11], v173 offset:576
	ds_read_b128 v[12:15], v173 offset:864
	v_mad_u64_u32 v[16:17], s[6:7], s4, v2, v[16:17]
	v_add_u32_e32 v17, s2, v17
	s_waitcnt vmcnt(0) lgkmcnt(1)
	v_mul_f64 v[18:19], v[10:11], v[6:7]
	v_mul_f64 v[6:7], v[8:9], v[6:7]
	v_fmac_f64_e32 v[18:19], v[8:9], v[4:5]
	v_fma_f64 v[6:7], v[4:5], v[10:11], -v[6:7]
	v_mul_f64 v[4:5], v[18:19], s[0:1]
	v_mul_f64 v[6:7], v[6:7], s[0:1]
	global_store_dwordx4 v[16:17], v[4:7], off
	global_load_dwordx4 v[4:7], v174, s[8:9] offset:864
	v_mad_u64_u32 v[16:17], s[6:7], s4, v2, v[16:17]
	v_add_u32_e32 v17, s2, v17
	s_waitcnt vmcnt(0) lgkmcnt(0)
	v_mul_f64 v[8:9], v[14:15], v[6:7]
	v_mul_f64 v[6:7], v[12:13], v[6:7]
	v_fmac_f64_e32 v[8:9], v[12:13], v[4:5]
	v_fma_f64 v[6:7], v[4:5], v[14:15], -v[6:7]
	v_mul_f64 v[4:5], v[8:9], s[0:1]
	v_mul_f64 v[6:7], v[6:7], s[0:1]
	global_store_dwordx4 v[16:17], v[4:7], off
	global_load_dwordx4 v[4:7], v174, s[8:9] offset:1152
	ds_read_b128 v[8:11], v173 offset:1152
	ds_read_b128 v[12:15], v173 offset:1440
	v_mad_u64_u32 v[16:17], s[6:7], s4, v2, v[16:17]
	v_add_u32_e32 v17, s2, v17
	s_waitcnt vmcnt(0) lgkmcnt(1)
	v_mul_f64 v[18:19], v[10:11], v[6:7]
	v_mul_f64 v[6:7], v[8:9], v[6:7]
	v_fmac_f64_e32 v[18:19], v[8:9], v[4:5]
	v_fma_f64 v[6:7], v[4:5], v[10:11], -v[6:7]
	v_mul_f64 v[4:5], v[18:19], s[0:1]
	v_mul_f64 v[6:7], v[6:7], s[0:1]
	global_store_dwordx4 v[16:17], v[4:7], off
	global_load_dwordx4 v[4:7], v174, s[8:9] offset:1440
	v_mad_u64_u32 v[16:17], s[6:7], s4, v2, v[16:17]
	v_add_u32_e32 v17, s2, v17
	s_waitcnt vmcnt(0) lgkmcnt(0)
	v_mul_f64 v[8:9], v[14:15], v[6:7]
	v_mul_f64 v[6:7], v[12:13], v[6:7]
	v_fmac_f64_e32 v[8:9], v[12:13], v[4:5]
	v_fma_f64 v[6:7], v[4:5], v[14:15], -v[6:7]
	;; [unrolled: 24-line block ×5, first 2 shown]
	v_mul_f64 v[4:5], v[8:9], s[0:1]
	v_mul_f64 v[6:7], v[6:7], s[0:1]
	global_store_dwordx4 v[16:17], v[4:7], off
	global_load_dwordx4 v[4:7], v174, s[8:9] offset:3456
	ds_read_b128 v[8:11], v173 offset:3456
	ds_read_b128 v[12:15], v173 offset:3744
	v_mad_u64_u32 v[16:17], s[6:7], s4, v2, v[16:17]
	v_add_u32_e32 v17, s2, v17
	s_waitcnt vmcnt(0) lgkmcnt(1)
	v_mul_f64 v[18:19], v[10:11], v[6:7]
	v_mul_f64 v[6:7], v[8:9], v[6:7]
	v_fmac_f64_e32 v[18:19], v[8:9], v[4:5]
	v_fma_f64 v[6:7], v[4:5], v[10:11], -v[6:7]
	v_mul_f64 v[4:5], v[18:19], s[0:1]
	v_mul_f64 v[6:7], v[6:7], s[0:1]
	global_store_dwordx4 v[16:17], v[4:7], off
	global_load_dwordx4 v[4:7], v174, s[8:9] offset:3744
	v_mad_u64_u32 v[16:17], s[6:7], s4, v2, v[16:17]
	v_add_u32_e32 v17, s2, v17
	v_lshl_add_u64 v[18:19], s[8:9], 0, v[174:175]
	v_add_co_u32_e32 v18, vcc, s3, v18
	s_waitcnt vmcnt(0) lgkmcnt(0)
	v_mul_f64 v[8:9], v[14:15], v[6:7]
	v_mul_f64 v[6:7], v[12:13], v[6:7]
	v_fmac_f64_e32 v[8:9], v[12:13], v[4:5]
	v_fma_f64 v[6:7], v[4:5], v[14:15], -v[6:7]
	v_mul_f64 v[4:5], v[8:9], s[0:1]
	v_mul_f64 v[6:7], v[6:7], s[0:1]
	global_store_dwordx4 v[16:17], v[4:7], off
	global_load_dwordx4 v[4:7], v174, s[8:9] offset:4032
	ds_read_b128 v[8:11], v173 offset:4032
	ds_read_b128 v[12:15], v173 offset:4320
	v_mad_u64_u32 v[16:17], s[6:7], s4, v2, v[16:17]
	v_add_u32_e32 v17, s2, v17
	v_addc_co_u32_e32 v19, vcc, 0, v19, vcc
	s_waitcnt vmcnt(0) lgkmcnt(1)
	v_mul_f64 v[20:21], v[10:11], v[6:7]
	v_mul_f64 v[6:7], v[8:9], v[6:7]
	v_fmac_f64_e32 v[20:21], v[8:9], v[4:5]
	v_fma_f64 v[6:7], v[4:5], v[10:11], -v[6:7]
	v_mul_f64 v[4:5], v[20:21], s[0:1]
	v_mul_f64 v[6:7], v[6:7], s[0:1]
	global_store_dwordx4 v[16:17], v[4:7], off
	global_load_dwordx4 v[4:7], v[18:19], off offset:224
	v_mad_u64_u32 v[8:9], s[6:7], s4, v2, v[16:17]
	v_or_b32_e32 v18, 0x120, v172
	v_add_u32_e32 v9, s2, v9
	v_lshlrev_b32_e32 v10, 4, v18
	s_waitcnt vmcnt(0) lgkmcnt(0)
	v_mul_f64 v[2:3], v[14:15], v[6:7]
	v_mul_f64 v[6:7], v[12:13], v[6:7]
	v_fmac_f64_e32 v[2:3], v[12:13], v[4:5]
	v_fma_f64 v[4:5], v[4:5], v[14:15], -v[6:7]
	v_mul_f64 v[2:3], v[2:3], s[0:1]
	v_mul_f64 v[4:5], v[4:5], s[0:1]
	global_store_dwordx4 v[8:9], v[2:5], off
	global_load_dwordx4 v[2:5], v10, s[8:9]
	ds_read_b128 v[6:9], v173 offset:4608
	v_mad_u64_u32 v[10:11], s[2:3], s4, v18, 0
	v_mov_b32_e32 v12, v11
	v_mad_u64_u32 v[12:13], s[2:3], s5, v18, v[12:13]
	v_mov_b32_e32 v11, v12
	v_lshl_add_u64 v[0:1], v[10:11], 4, v[0:1]
	s_waitcnt vmcnt(0) lgkmcnt(0)
	v_mul_f64 v[12:13], v[8:9], v[4:5]
	v_mul_f64 v[4:5], v[6:7], v[4:5]
	v_fmac_f64_e32 v[12:13], v[6:7], v[2:3]
	v_fma_f64 v[4:5], v[2:3], v[8:9], -v[4:5]
	v_mul_f64 v[2:3], v[12:13], s[0:1]
	v_mul_f64 v[4:5], v[4:5], s[0:1]
	global_store_dwordx4 v[0:1], v[2:5], off
.LBB0_23:
	s_endpgm
	.section	.rodata,"a",@progbits
	.p2align	6, 0x0
	.amdhsa_kernel bluestein_single_fwd_len306_dim1_dp_op_CI_CI
		.amdhsa_group_segment_fixed_size 34272
		.amdhsa_private_segment_fixed_size 0
		.amdhsa_kernarg_size 104
		.amdhsa_user_sgpr_count 2
		.amdhsa_user_sgpr_dispatch_ptr 0
		.amdhsa_user_sgpr_queue_ptr 0
		.amdhsa_user_sgpr_kernarg_segment_ptr 1
		.amdhsa_user_sgpr_dispatch_id 0
		.amdhsa_user_sgpr_kernarg_preload_length 0
		.amdhsa_user_sgpr_kernarg_preload_offset 0
		.amdhsa_user_sgpr_private_segment_size 0
		.amdhsa_uses_dynamic_stack 0
		.amdhsa_enable_private_segment 0
		.amdhsa_system_sgpr_workgroup_id_x 1
		.amdhsa_system_sgpr_workgroup_id_y 0
		.amdhsa_system_sgpr_workgroup_id_z 0
		.amdhsa_system_sgpr_workgroup_info 0
		.amdhsa_system_vgpr_workitem_id 0
		.amdhsa_next_free_vgpr 386
		.amdhsa_next_free_sgpr 62
		.amdhsa_accum_offset 256
		.amdhsa_reserve_vcc 1
		.amdhsa_float_round_mode_32 0
		.amdhsa_float_round_mode_16_64 0
		.amdhsa_float_denorm_mode_32 3
		.amdhsa_float_denorm_mode_16_64 3
		.amdhsa_dx10_clamp 1
		.amdhsa_ieee_mode 1
		.amdhsa_fp16_overflow 0
		.amdhsa_tg_split 0
		.amdhsa_exception_fp_ieee_invalid_op 0
		.amdhsa_exception_fp_denorm_src 0
		.amdhsa_exception_fp_ieee_div_zero 0
		.amdhsa_exception_fp_ieee_overflow 0
		.amdhsa_exception_fp_ieee_underflow 0
		.amdhsa_exception_fp_ieee_inexact 0
		.amdhsa_exception_int_div_zero 0
	.end_amdhsa_kernel
	.text
.Lfunc_end0:
	.size	bluestein_single_fwd_len306_dim1_dp_op_CI_CI, .Lfunc_end0-bluestein_single_fwd_len306_dim1_dp_op_CI_CI
                                        ; -- End function
	.section	.AMDGPU.csdata,"",@progbits
; Kernel info:
; codeLenInByte = 23948
; NumSgprs: 68
; NumVgprs: 256
; NumAgprs: 130
; TotalNumVgprs: 386
; ScratchSize: 0
; MemoryBound: 0
; FloatMode: 240
; IeeeMode: 1
; LDSByteSize: 34272 bytes/workgroup (compile time only)
; SGPRBlocks: 8
; VGPRBlocks: 48
; NumSGPRsForWavesPerEU: 68
; NumVGPRsForWavesPerEU: 386
; AccumOffset: 256
; Occupancy: 1
; WaveLimiterHint : 1
; COMPUTE_PGM_RSRC2:SCRATCH_EN: 0
; COMPUTE_PGM_RSRC2:USER_SGPR: 2
; COMPUTE_PGM_RSRC2:TRAP_HANDLER: 0
; COMPUTE_PGM_RSRC2:TGID_X_EN: 1
; COMPUTE_PGM_RSRC2:TGID_Y_EN: 0
; COMPUTE_PGM_RSRC2:TGID_Z_EN: 0
; COMPUTE_PGM_RSRC2:TIDIG_COMP_CNT: 0
; COMPUTE_PGM_RSRC3_GFX90A:ACCUM_OFFSET: 63
; COMPUTE_PGM_RSRC3_GFX90A:TG_SPLIT: 0
	.text
	.p2alignl 6, 3212836864
	.fill 256, 4, 3212836864
	.type	__hip_cuid_c6dd36dc2e97d79b,@object ; @__hip_cuid_c6dd36dc2e97d79b
	.section	.bss,"aw",@nobits
	.globl	__hip_cuid_c6dd36dc2e97d79b
__hip_cuid_c6dd36dc2e97d79b:
	.byte	0                               ; 0x0
	.size	__hip_cuid_c6dd36dc2e97d79b, 1

	.ident	"AMD clang version 19.0.0git (https://github.com/RadeonOpenCompute/llvm-project roc-6.4.0 25133 c7fe45cf4b819c5991fe208aaa96edf142730f1d)"
	.section	".note.GNU-stack","",@progbits
	.addrsig
	.addrsig_sym __hip_cuid_c6dd36dc2e97d79b
	.amdgpu_metadata
---
amdhsa.kernels:
  - .agpr_count:     130
    .args:
      - .actual_access:  read_only
        .address_space:  global
        .offset:         0
        .size:           8
        .value_kind:     global_buffer
      - .actual_access:  read_only
        .address_space:  global
        .offset:         8
        .size:           8
        .value_kind:     global_buffer
      - .actual_access:  read_only
        .address_space:  global
        .offset:         16
        .size:           8
        .value_kind:     global_buffer
      - .actual_access:  read_only
        .address_space:  global
        .offset:         24
        .size:           8
        .value_kind:     global_buffer
      - .actual_access:  read_only
        .address_space:  global
        .offset:         32
        .size:           8
        .value_kind:     global_buffer
      - .offset:         40
        .size:           8
        .value_kind:     by_value
      - .address_space:  global
        .offset:         48
        .size:           8
        .value_kind:     global_buffer
      - .address_space:  global
        .offset:         56
        .size:           8
        .value_kind:     global_buffer
      - .address_space:  global
        .offset:         64
        .size:           8
        .value_kind:     global_buffer
      - .address_space:  global
        .offset:         72
        .size:           8
        .value_kind:     global_buffer
      - .offset:         80
        .size:           4
        .value_kind:     by_value
      - .address_space:  global
        .offset:         88
        .size:           8
        .value_kind:     global_buffer
      - .address_space:  global
        .offset:         96
        .size:           8
        .value_kind:     global_buffer
    .group_segment_fixed_size: 34272
    .kernarg_segment_align: 8
    .kernarg_segment_size: 104
    .language:       OpenCL C
    .language_version:
      - 2
      - 0
    .max_flat_workgroup_size: 238
    .name:           bluestein_single_fwd_len306_dim1_dp_op_CI_CI
    .private_segment_fixed_size: 0
    .sgpr_count:     68
    .sgpr_spill_count: 0
    .symbol:         bluestein_single_fwd_len306_dim1_dp_op_CI_CI.kd
    .uniform_work_group_size: 1
    .uses_dynamic_stack: false
    .vgpr_count:     386
    .vgpr_spill_count: 0
    .wavefront_size: 64
amdhsa.target:   amdgcn-amd-amdhsa--gfx950
amdhsa.version:
  - 1
  - 2
...

	.end_amdgpu_metadata
